;; amdgpu-corpus repo=ROCm/rocFFT kind=compiled arch=gfx1100 opt=O3
	.text
	.amdgcn_target "amdgcn-amd-amdhsa--gfx1100"
	.amdhsa_code_object_version 6
	.protected	fft_rtc_back_len1764_factors_2_2_3_3_7_7_wgs_126_tpt_126_halfLds_dp_op_CI_CI_unitstride_sbrr_C2R_dirReg ; -- Begin function fft_rtc_back_len1764_factors_2_2_3_3_7_7_wgs_126_tpt_126_halfLds_dp_op_CI_CI_unitstride_sbrr_C2R_dirReg
	.globl	fft_rtc_back_len1764_factors_2_2_3_3_7_7_wgs_126_tpt_126_halfLds_dp_op_CI_CI_unitstride_sbrr_C2R_dirReg
	.p2align	8
	.type	fft_rtc_back_len1764_factors_2_2_3_3_7_7_wgs_126_tpt_126_halfLds_dp_op_CI_CI_unitstride_sbrr_C2R_dirReg,@function
fft_rtc_back_len1764_factors_2_2_3_3_7_7_wgs_126_tpt_126_halfLds_dp_op_CI_CI_unitstride_sbrr_C2R_dirReg: ; @fft_rtc_back_len1764_factors_2_2_3_3_7_7_wgs_126_tpt_126_halfLds_dp_op_CI_CI_unitstride_sbrr_C2R_dirReg
; %bb.0:
	s_clause 0x2
	s_load_b128 s[8:11], s[0:1], 0x0
	s_load_b128 s[4:7], s[0:1], 0x58
	;; [unrolled: 1-line block ×3, first 2 shown]
	v_mul_u32_u24_e32 v1, 0x209, v0
	v_mov_b32_e32 v3, 0
	s_delay_alu instid0(VALU_DEP_2) | instskip(NEXT) | instid1(VALU_DEP_1)
	v_lshrrev_b32_e32 v1, 16, v1
	v_add_nc_u32_e32 v5, s15, v1
	v_mov_b32_e32 v1, 0
	v_mov_b32_e32 v2, 0
	;; [unrolled: 1-line block ×3, first 2 shown]
	s_waitcnt lgkmcnt(0)
	v_cmp_lt_u64_e64 s2, s[10:11], 2
	s_delay_alu instid0(VALU_DEP_1)
	s_and_b32 vcc_lo, exec_lo, s2
	s_cbranch_vccnz .LBB0_8
; %bb.1:
	s_load_b64 s[2:3], s[0:1], 0x10
	v_mov_b32_e32 v1, 0
	v_mov_b32_e32 v2, 0
	s_add_u32 s12, s18, 8
	s_addc_u32 s13, s19, 0
	s_add_u32 s14, s16, 8
	s_addc_u32 s15, s17, 0
	v_dual_mov_b32 v61, v2 :: v_dual_mov_b32 v60, v1
	s_mov_b64 s[22:23], 1
	s_waitcnt lgkmcnt(0)
	s_add_u32 s20, s2, 8
	s_addc_u32 s21, s3, 0
.LBB0_2:                                ; =>This Inner Loop Header: Depth=1
	s_load_b64 s[24:25], s[20:21], 0x0
                                        ; implicit-def: $vgpr64_vgpr65
	s_mov_b32 s2, exec_lo
	s_waitcnt lgkmcnt(0)
	v_or_b32_e32 v4, s25, v6
	s_delay_alu instid0(VALU_DEP_1)
	v_cmpx_ne_u64_e32 0, v[3:4]
	s_xor_b32 s3, exec_lo, s2
	s_cbranch_execz .LBB0_4
; %bb.3:                                ;   in Loop: Header=BB0_2 Depth=1
	v_cvt_f32_u32_e32 v4, s24
	v_cvt_f32_u32_e32 v7, s25
	s_sub_u32 s2, 0, s24
	s_subb_u32 s26, 0, s25
	s_delay_alu instid0(VALU_DEP_1) | instskip(NEXT) | instid1(VALU_DEP_1)
	v_fmac_f32_e32 v4, 0x4f800000, v7
	v_rcp_f32_e32 v4, v4
	s_waitcnt_depctr 0xfff
	v_mul_f32_e32 v4, 0x5f7ffffc, v4
	s_delay_alu instid0(VALU_DEP_1) | instskip(NEXT) | instid1(VALU_DEP_1)
	v_mul_f32_e32 v7, 0x2f800000, v4
	v_trunc_f32_e32 v7, v7
	s_delay_alu instid0(VALU_DEP_1) | instskip(SKIP_1) | instid1(VALU_DEP_2)
	v_fmac_f32_e32 v4, 0xcf800000, v7
	v_cvt_u32_f32_e32 v7, v7
	v_cvt_u32_f32_e32 v4, v4
	s_delay_alu instid0(VALU_DEP_2) | instskip(NEXT) | instid1(VALU_DEP_2)
	v_mul_lo_u32 v8, s2, v7
	v_mul_hi_u32 v9, s2, v4
	v_mul_lo_u32 v10, s26, v4
	s_delay_alu instid0(VALU_DEP_2) | instskip(SKIP_1) | instid1(VALU_DEP_2)
	v_add_nc_u32_e32 v8, v9, v8
	v_mul_lo_u32 v9, s2, v4
	v_add_nc_u32_e32 v8, v8, v10
	s_delay_alu instid0(VALU_DEP_2) | instskip(NEXT) | instid1(VALU_DEP_2)
	v_mul_hi_u32 v10, v4, v9
	v_mul_lo_u32 v11, v4, v8
	v_mul_hi_u32 v12, v4, v8
	v_mul_hi_u32 v13, v7, v9
	v_mul_lo_u32 v9, v7, v9
	v_mul_hi_u32 v14, v7, v8
	v_mul_lo_u32 v8, v7, v8
	v_add_co_u32 v10, vcc_lo, v10, v11
	v_add_co_ci_u32_e32 v11, vcc_lo, 0, v12, vcc_lo
	s_delay_alu instid0(VALU_DEP_2) | instskip(NEXT) | instid1(VALU_DEP_2)
	v_add_co_u32 v9, vcc_lo, v10, v9
	v_add_co_ci_u32_e32 v9, vcc_lo, v11, v13, vcc_lo
	v_add_co_ci_u32_e32 v10, vcc_lo, 0, v14, vcc_lo
	s_delay_alu instid0(VALU_DEP_2) | instskip(NEXT) | instid1(VALU_DEP_2)
	v_add_co_u32 v8, vcc_lo, v9, v8
	v_add_co_ci_u32_e32 v9, vcc_lo, 0, v10, vcc_lo
	s_delay_alu instid0(VALU_DEP_2) | instskip(NEXT) | instid1(VALU_DEP_2)
	v_add_co_u32 v4, vcc_lo, v4, v8
	v_add_co_ci_u32_e32 v7, vcc_lo, v7, v9, vcc_lo
	s_delay_alu instid0(VALU_DEP_2) | instskip(SKIP_1) | instid1(VALU_DEP_3)
	v_mul_hi_u32 v8, s2, v4
	v_mul_lo_u32 v10, s26, v4
	v_mul_lo_u32 v9, s2, v7
	s_delay_alu instid0(VALU_DEP_1) | instskip(SKIP_1) | instid1(VALU_DEP_2)
	v_add_nc_u32_e32 v8, v8, v9
	v_mul_lo_u32 v9, s2, v4
	v_add_nc_u32_e32 v8, v8, v10
	s_delay_alu instid0(VALU_DEP_2) | instskip(NEXT) | instid1(VALU_DEP_2)
	v_mul_hi_u32 v10, v4, v9
	v_mul_lo_u32 v11, v4, v8
	v_mul_hi_u32 v12, v4, v8
	v_mul_hi_u32 v13, v7, v9
	v_mul_lo_u32 v9, v7, v9
	v_mul_hi_u32 v14, v7, v8
	v_mul_lo_u32 v8, v7, v8
	v_add_co_u32 v10, vcc_lo, v10, v11
	v_add_co_ci_u32_e32 v11, vcc_lo, 0, v12, vcc_lo
	s_delay_alu instid0(VALU_DEP_2) | instskip(NEXT) | instid1(VALU_DEP_2)
	v_add_co_u32 v9, vcc_lo, v10, v9
	v_add_co_ci_u32_e32 v9, vcc_lo, v11, v13, vcc_lo
	v_add_co_ci_u32_e32 v10, vcc_lo, 0, v14, vcc_lo
	s_delay_alu instid0(VALU_DEP_2) | instskip(NEXT) | instid1(VALU_DEP_2)
	v_add_co_u32 v8, vcc_lo, v9, v8
	v_add_co_ci_u32_e32 v9, vcc_lo, 0, v10, vcc_lo
	s_delay_alu instid0(VALU_DEP_2) | instskip(NEXT) | instid1(VALU_DEP_2)
	v_add_co_u32 v4, vcc_lo, v4, v8
	v_add_co_ci_u32_e32 v13, vcc_lo, v7, v9, vcc_lo
	s_delay_alu instid0(VALU_DEP_2) | instskip(SKIP_1) | instid1(VALU_DEP_3)
	v_mul_hi_u32 v14, v5, v4
	v_mad_u64_u32 v[9:10], null, v6, v4, 0
	v_mad_u64_u32 v[7:8], null, v5, v13, 0
	;; [unrolled: 1-line block ×3, first 2 shown]
	s_delay_alu instid0(VALU_DEP_2) | instskip(NEXT) | instid1(VALU_DEP_3)
	v_add_co_u32 v4, vcc_lo, v14, v7
	v_add_co_ci_u32_e32 v7, vcc_lo, 0, v8, vcc_lo
	s_delay_alu instid0(VALU_DEP_2) | instskip(NEXT) | instid1(VALU_DEP_2)
	v_add_co_u32 v4, vcc_lo, v4, v9
	v_add_co_ci_u32_e32 v4, vcc_lo, v7, v10, vcc_lo
	v_add_co_ci_u32_e32 v7, vcc_lo, 0, v12, vcc_lo
	s_delay_alu instid0(VALU_DEP_2) | instskip(NEXT) | instid1(VALU_DEP_2)
	v_add_co_u32 v4, vcc_lo, v4, v11
	v_add_co_ci_u32_e32 v9, vcc_lo, 0, v7, vcc_lo
	s_delay_alu instid0(VALU_DEP_2) | instskip(SKIP_1) | instid1(VALU_DEP_3)
	v_mul_lo_u32 v10, s25, v4
	v_mad_u64_u32 v[7:8], null, s24, v4, 0
	v_mul_lo_u32 v11, s24, v9
	s_delay_alu instid0(VALU_DEP_2) | instskip(NEXT) | instid1(VALU_DEP_2)
	v_sub_co_u32 v7, vcc_lo, v5, v7
	v_add3_u32 v8, v8, v11, v10
	s_delay_alu instid0(VALU_DEP_1) | instskip(NEXT) | instid1(VALU_DEP_1)
	v_sub_nc_u32_e32 v10, v6, v8
	v_subrev_co_ci_u32_e64 v10, s2, s25, v10, vcc_lo
	v_add_co_u32 v11, s2, v4, 2
	s_delay_alu instid0(VALU_DEP_1) | instskip(SKIP_3) | instid1(VALU_DEP_3)
	v_add_co_ci_u32_e64 v12, s2, 0, v9, s2
	v_sub_co_u32 v13, s2, v7, s24
	v_sub_co_ci_u32_e32 v8, vcc_lo, v6, v8, vcc_lo
	v_subrev_co_ci_u32_e64 v10, s2, 0, v10, s2
	v_cmp_le_u32_e32 vcc_lo, s24, v13
	s_delay_alu instid0(VALU_DEP_3) | instskip(SKIP_1) | instid1(VALU_DEP_4)
	v_cmp_eq_u32_e64 s2, s25, v8
	v_cndmask_b32_e64 v13, 0, -1, vcc_lo
	v_cmp_le_u32_e32 vcc_lo, s25, v10
	v_cndmask_b32_e64 v14, 0, -1, vcc_lo
	v_cmp_le_u32_e32 vcc_lo, s24, v7
	;; [unrolled: 2-line block ×3, first 2 shown]
	v_cndmask_b32_e64 v15, 0, -1, vcc_lo
	v_cmp_eq_u32_e32 vcc_lo, s25, v10
	s_delay_alu instid0(VALU_DEP_2) | instskip(SKIP_3) | instid1(VALU_DEP_3)
	v_cndmask_b32_e64 v7, v15, v7, s2
	v_cndmask_b32_e32 v10, v14, v13, vcc_lo
	v_add_co_u32 v13, vcc_lo, v4, 1
	v_add_co_ci_u32_e32 v14, vcc_lo, 0, v9, vcc_lo
	v_cmp_ne_u32_e32 vcc_lo, 0, v10
	s_delay_alu instid0(VALU_DEP_2) | instskip(NEXT) | instid1(VALU_DEP_4)
	v_cndmask_b32_e32 v8, v14, v12, vcc_lo
	v_cndmask_b32_e32 v10, v13, v11, vcc_lo
	v_cmp_ne_u32_e32 vcc_lo, 0, v7
	s_delay_alu instid0(VALU_DEP_2)
	v_dual_cndmask_b32 v65, v9, v8 :: v_dual_cndmask_b32 v64, v4, v10
.LBB0_4:                                ;   in Loop: Header=BB0_2 Depth=1
	s_and_not1_saveexec_b32 s2, s3
	s_cbranch_execz .LBB0_6
; %bb.5:                                ;   in Loop: Header=BB0_2 Depth=1
	v_cvt_f32_u32_e32 v4, s24
	s_sub_i32 s3, 0, s24
	v_mov_b32_e32 v65, v3
	s_delay_alu instid0(VALU_DEP_2) | instskip(SKIP_2) | instid1(VALU_DEP_1)
	v_rcp_iflag_f32_e32 v4, v4
	s_waitcnt_depctr 0xfff
	v_mul_f32_e32 v4, 0x4f7ffffe, v4
	v_cvt_u32_f32_e32 v4, v4
	s_delay_alu instid0(VALU_DEP_1) | instskip(NEXT) | instid1(VALU_DEP_1)
	v_mul_lo_u32 v7, s3, v4
	v_mul_hi_u32 v7, v4, v7
	s_delay_alu instid0(VALU_DEP_1) | instskip(NEXT) | instid1(VALU_DEP_1)
	v_add_nc_u32_e32 v4, v4, v7
	v_mul_hi_u32 v4, v5, v4
	s_delay_alu instid0(VALU_DEP_1) | instskip(SKIP_1) | instid1(VALU_DEP_2)
	v_mul_lo_u32 v7, v4, s24
	v_add_nc_u32_e32 v8, 1, v4
	v_sub_nc_u32_e32 v7, v5, v7
	s_delay_alu instid0(VALU_DEP_1) | instskip(SKIP_1) | instid1(VALU_DEP_2)
	v_subrev_nc_u32_e32 v9, s24, v7
	v_cmp_le_u32_e32 vcc_lo, s24, v7
	v_dual_cndmask_b32 v7, v7, v9 :: v_dual_cndmask_b32 v4, v4, v8
	s_delay_alu instid0(VALU_DEP_1) | instskip(NEXT) | instid1(VALU_DEP_2)
	v_cmp_le_u32_e32 vcc_lo, s24, v7
	v_add_nc_u32_e32 v8, 1, v4
	s_delay_alu instid0(VALU_DEP_1)
	v_cndmask_b32_e32 v64, v4, v8, vcc_lo
.LBB0_6:                                ;   in Loop: Header=BB0_2 Depth=1
	s_or_b32 exec_lo, exec_lo, s2
	s_delay_alu instid0(VALU_DEP_1) | instskip(NEXT) | instid1(VALU_DEP_2)
	v_mul_lo_u32 v4, v65, s24
	v_mul_lo_u32 v9, v64, s25
	s_load_b64 s[2:3], s[14:15], 0x0
	v_mad_u64_u32 v[7:8], null, v64, s24, 0
	s_load_b64 s[24:25], s[12:13], 0x0
	s_add_u32 s22, s22, 1
	s_addc_u32 s23, s23, 0
	s_add_u32 s12, s12, 8
	s_addc_u32 s13, s13, 0
	s_add_u32 s14, s14, 8
	s_delay_alu instid0(VALU_DEP_1) | instskip(SKIP_3) | instid1(VALU_DEP_2)
	v_add3_u32 v4, v8, v9, v4
	v_sub_co_u32 v8, vcc_lo, v5, v7
	s_addc_u32 s15, s15, 0
	s_add_u32 s20, s20, 8
	v_sub_co_ci_u32_e32 v6, vcc_lo, v6, v4, vcc_lo
	s_addc_u32 s21, s21, 0
	s_waitcnt lgkmcnt(0)
	s_delay_alu instid0(VALU_DEP_1)
	v_mul_lo_u32 v9, s2, v6
	v_mul_lo_u32 v10, s3, v8
	v_mad_u64_u32 v[4:5], null, s2, v8, v[1:2]
	v_mul_lo_u32 v11, s24, v6
	v_mul_lo_u32 v12, s25, v8
	v_mad_u64_u32 v[6:7], null, s24, v8, v[60:61]
	v_cmp_ge_u64_e64 s2, s[22:23], s[10:11]
	v_add3_u32 v2, v10, v5, v9
	s_delay_alu instid0(VALU_DEP_3) | instskip(NEXT) | instid1(VALU_DEP_4)
	v_dual_mov_b32 v1, v4 :: v_dual_mov_b32 v60, v6
	v_add3_u32 v61, v12, v7, v11
	s_delay_alu instid0(VALU_DEP_4)
	s_and_b32 vcc_lo, exec_lo, s2
	s_cbranch_vccnz .LBB0_9
; %bb.7:                                ;   in Loop: Header=BB0_2 Depth=1
	v_dual_mov_b32 v5, v64 :: v_dual_mov_b32 v6, v65
	s_branch .LBB0_2
.LBB0_8:
	v_dual_mov_b32 v61, v2 :: v_dual_mov_b32 v60, v1
	v_dual_mov_b32 v65, v6 :: v_dual_mov_b32 v64, v5
.LBB0_9:
	s_load_b64 s[0:1], s[0:1], 0x28
	v_mul_hi_u32 v3, 0x2082083, v0
	s_lshl_b64 s[10:11], s[10:11], 3
                                        ; implicit-def: $vgpr62
	s_delay_alu instid0(SALU_CYCLE_1) | instskip(SKIP_4) | instid1(VALU_DEP_1)
	s_add_u32 s2, s18, s10
	s_addc_u32 s3, s19, s11
	s_waitcnt lgkmcnt(0)
	v_cmp_gt_u64_e32 vcc_lo, s[0:1], v[64:65]
	v_cmp_le_u64_e64 s0, s[0:1], v[64:65]
	s_and_saveexec_b32 s1, s0
	s_delay_alu instid0(SALU_CYCLE_1)
	s_xor_b32 s0, exec_lo, s1
; %bb.10:
	v_mul_u32_u24_e32 v1, 0x7e, v3
                                        ; implicit-def: $vgpr3
	s_delay_alu instid0(VALU_DEP_1)
	v_sub_nc_u32_e32 v62, v0, v1
                                        ; implicit-def: $vgpr0
                                        ; implicit-def: $vgpr1_vgpr2
; %bb.11:
	s_or_saveexec_b32 s1, s0
	s_load_b64 s[2:3], s[2:3], 0x0
	s_xor_b32 exec_lo, exec_lo, s1
	s_cbranch_execz .LBB0_15
; %bb.12:
	s_add_u32 s10, s16, s10
	s_addc_u32 s11, s17, s11
	v_lshlrev_b64 v[1:2], 4, v[1:2]
	s_load_b64 s[10:11], s[10:11], 0x0
	s_waitcnt lgkmcnt(0)
	v_mul_lo_u32 v6, s11, v64
	v_mul_lo_u32 v7, s10, v65
	v_mad_u64_u32 v[4:5], null, s10, v64, 0
	s_delay_alu instid0(VALU_DEP_1) | instskip(SKIP_1) | instid1(VALU_DEP_2)
	v_add3_u32 v5, v5, v7, v6
	v_mul_u32_u24_e32 v6, 0x7e, v3
	v_lshlrev_b64 v[3:4], 4, v[4:5]
	s_delay_alu instid0(VALU_DEP_2) | instskip(NEXT) | instid1(VALU_DEP_1)
	v_sub_nc_u32_e32 v62, v0, v6
	v_lshlrev_b32_e32 v58, 4, v62
	s_delay_alu instid0(VALU_DEP_3) | instskip(NEXT) | instid1(VALU_DEP_1)
	v_add_co_u32 v0, s0, s4, v3
	v_add_co_ci_u32_e64 v3, s0, s5, v4, s0
	s_mov_b32 s4, exec_lo
	s_delay_alu instid0(VALU_DEP_2) | instskip(NEXT) | instid1(VALU_DEP_1)
	v_add_co_u32 v0, s0, v0, v1
	v_add_co_ci_u32_e64 v1, s0, v3, v2, s0
	s_delay_alu instid0(VALU_DEP_2) | instskip(NEXT) | instid1(VALU_DEP_1)
	v_add_co_u32 v10, s0, v0, v58
	v_add_co_ci_u32_e64 v11, s0, 0, v1, s0
	s_clause 0x1
	global_load_b128 v[2:5], v[10:11], off
	global_load_b128 v[6:9], v[10:11], off offset:2016
	v_add_co_u32 v18, s0, 0x1000, v10
	s_delay_alu instid0(VALU_DEP_1) | instskip(SKIP_1) | instid1(VALU_DEP_1)
	v_add_co_ci_u32_e64 v19, s0, 0, v11, s0
	v_add_co_u32 v26, s0, 0x2000, v10
	v_add_co_ci_u32_e64 v27, s0, 0, v11, s0
	v_add_co_u32 v34, s0, 0x3000, v10
	s_delay_alu instid0(VALU_DEP_1) | instskip(SKIP_1) | instid1(VALU_DEP_1)
	v_add_co_ci_u32_e64 v35, s0, 0, v11, s0
	v_add_co_u32 v42, s0, 0x4000, v10
	v_add_co_ci_u32_e64 v43, s0, 0, v11, s0
	;; [unrolled: 5-line block ×3, first 2 shown]
	s_clause 0xb
	global_load_b128 v[10:13], v[10:11], off offset:4032
	global_load_b128 v[14:17], v[18:19], off offset:1952
	;; [unrolled: 1-line block ×12, first 2 shown]
	v_add_nc_u32_e32 v58, 0, v58
	s_waitcnt vmcnt(13)
	ds_store_b128 v58, v[2:5]
	s_waitcnt vmcnt(12)
	ds_store_b128 v58, v[6:9] offset:2016
	s_waitcnt vmcnt(11)
	ds_store_b128 v58, v[10:13] offset:4032
	;; [unrolled: 2-line block ×13, first 2 shown]
	v_cmpx_eq_u32_e32 0x7d, v62
	s_cbranch_execz .LBB0_14
; %bb.13:
	v_add_co_u32 v0, s0, 0x6000, v0
	s_delay_alu instid0(VALU_DEP_1)
	v_add_co_ci_u32_e64 v1, s0, 0, v1, s0
	v_mov_b32_e32 v4, 0
	v_mov_b32_e32 v62, 0x7d
	global_load_b128 v[0:3], v[0:1], off offset:3648
	s_waitcnt vmcnt(0)
	ds_store_b128 v4, v[0:3] offset:28224
.LBB0_14:
	s_or_b32 exec_lo, exec_lo, s4
.LBB0_15:
	s_delay_alu instid0(SALU_CYCLE_1)
	s_or_b32 exec_lo, exec_lo, s1
	v_lshlrev_b32_e32 v0, 4, v62
	s_waitcnt lgkmcnt(0)
	s_barrier
	buffer_gl0_inv
	s_add_u32 s1, s8, 0x6e20
	v_add_nc_u32_e32 v66, 0, v0
	v_sub_nc_u32_e32 v10, 0, v0
	s_addc_u32 s4, s9, 0
	s_mov_b32 s5, exec_lo
                                        ; implicit-def: $vgpr4_vgpr5
	ds_load_b64 v[6:7], v66
	ds_load_b64 v[8:9], v10 offset:28224
	s_waitcnt lgkmcnt(0)
	v_add_f64 v[0:1], v[6:7], v[8:9]
	v_add_f64 v[2:3], v[6:7], -v[8:9]
	v_cmpx_ne_u32_e32 0, v62
	s_xor_b32 s5, exec_lo, s5
	s_cbranch_execz .LBB0_17
; %bb.16:
	v_mov_b32_e32 v63, 0
	v_add_f64 v[13:14], v[6:7], v[8:9]
	v_add_f64 v[15:16], v[6:7], -v[8:9]
	s_delay_alu instid0(VALU_DEP_3) | instskip(NEXT) | instid1(VALU_DEP_1)
	v_lshlrev_b64 v[0:1], 4, v[62:63]
	v_add_co_u32 v0, s0, s1, v0
	s_delay_alu instid0(VALU_DEP_1)
	v_add_co_ci_u32_e64 v1, s0, s4, v1, s0
	global_load_b128 v[2:5], v[0:1], off
	ds_load_b64 v[0:1], v10 offset:28232
	ds_load_b64 v[11:12], v66 offset:8
	s_waitcnt lgkmcnt(0)
	v_add_f64 v[6:7], v[0:1], v[11:12]
	v_add_f64 v[0:1], v[11:12], -v[0:1]
	s_waitcnt vmcnt(0)
	v_fma_f64 v[8:9], v[15:16], v[4:5], v[13:14]
	v_fma_f64 v[11:12], -v[15:16], v[4:5], v[13:14]
	s_delay_alu instid0(VALU_DEP_3) | instskip(SKIP_1) | instid1(VALU_DEP_4)
	v_fma_f64 v[13:14], v[6:7], v[4:5], -v[0:1]
	v_fma_f64 v[4:5], v[6:7], v[4:5], v[0:1]
	v_fma_f64 v[0:1], -v[6:7], v[2:3], v[8:9]
	s_delay_alu instid0(VALU_DEP_4) | instskip(NEXT) | instid1(VALU_DEP_4)
	v_fma_f64 v[6:7], v[6:7], v[2:3], v[11:12]
	v_fma_f64 v[8:9], v[15:16], v[2:3], v[13:14]
	s_delay_alu instid0(VALU_DEP_4)
	v_fma_f64 v[2:3], v[15:16], v[2:3], v[4:5]
	v_dual_mov_b32 v4, v62 :: v_dual_mov_b32 v5, v63
	ds_store_b128 v10, v[6:9] offset:28224
.LBB0_17:
	s_and_not1_saveexec_b32 s0, s5
	s_cbranch_execz .LBB0_19
; %bb.18:
	v_mov_b32_e32 v8, 0
	ds_load_b128 v[4:7], v8 offset:14112
	s_waitcnt lgkmcnt(0)
	v_add_f64 v[11:12], v[4:5], v[4:5]
	v_mul_f64 v[13:14], v[6:7], -2.0
	v_mov_b32_e32 v4, 0
	v_mov_b32_e32 v5, 0
	ds_store_b128 v8, v[11:14] offset:14112
.LBB0_19:
	s_or_b32 exec_lo, exec_lo, s0
	v_lshlrev_b64 v[4:5], 4, v[4:5]
	v_and_b32_e32 v74, 1, v62
	v_add_nc_u32_e32 v63, 0x7e, v62
	v_add_nc_u32_e32 v69, 0xfc, v62
	;; [unrolled: 1-line block ×4, first 2 shown]
	v_add_co_u32 v23, s0, s1, v4
	s_delay_alu instid0(VALU_DEP_1) | instskip(SKIP_1) | instid1(VALU_DEP_3)
	v_add_co_ci_u32_e64 v24, s0, s4, v5, s0
	v_add_nc_u32_e32 v72, 0x276, v62
	v_add_co_u32 v25, s0, 0x1000, v23
	s_clause 0x1
	global_load_b128 v[4:7], v[23:24], off offset:2016
	global_load_b128 v[11:14], v[23:24], off offset:4032
	ds_store_b128 v66, v[0:3]
	ds_load_b128 v[0:3], v66 offset:2016
	ds_load_b128 v[15:18], v10 offset:26208
	v_add_co_ci_u32_e64 v26, s0, 0, v24, s0
	v_add_nc_u32_e32 v73, 0x2f4, v62
	v_lshl_add_u32 v56, v62, 4, v66
	v_lshlrev_b32_e32 v76, 4, v74
	global_load_b128 v[19:22], v[25:26], off offset:1952
	v_lshl_add_u32 v57, v63, 5, 0
	v_lshl_add_u32 v58, v69, 5, 0
	;; [unrolled: 1-line block ×6, first 2 shown]
	s_waitcnt lgkmcnt(0)
	v_add_f64 v[8:9], v[0:1], v[15:16]
	v_add_f64 v[27:28], v[17:18], v[2:3]
	v_add_f64 v[15:16], v[0:1], -v[15:16]
	v_add_f64 v[0:1], v[2:3], -v[17:18]
	s_waitcnt vmcnt(2)
	s_delay_alu instid0(VALU_DEP_2) | instskip(NEXT) | instid1(VALU_DEP_2)
	v_fma_f64 v[2:3], v[15:16], v[6:7], v[8:9]
	v_fma_f64 v[17:18], v[27:28], v[6:7], v[0:1]
	v_fma_f64 v[8:9], -v[15:16], v[6:7], v[8:9]
	v_fma_f64 v[29:30], v[27:28], v[6:7], -v[0:1]
	s_delay_alu instid0(VALU_DEP_4) | instskip(NEXT) | instid1(VALU_DEP_4)
	v_fma_f64 v[0:1], -v[27:28], v[4:5], v[2:3]
	v_fma_f64 v[2:3], v[15:16], v[4:5], v[17:18]
	s_delay_alu instid0(VALU_DEP_4) | instskip(NEXT) | instid1(VALU_DEP_4)
	v_fma_f64 v[6:7], v[27:28], v[4:5], v[8:9]
	v_fma_f64 v[8:9], v[15:16], v[4:5], v[29:30]
	ds_store_b128 v66, v[0:3] offset:2016
	ds_store_b128 v10, v[6:9] offset:26208
	ds_load_b128 v[0:3], v66 offset:4032
	ds_load_b128 v[4:7], v10 offset:24192
	global_load_b128 v[15:18], v[25:26], off offset:3968
	s_waitcnt lgkmcnt(0)
	v_add_f64 v[8:9], v[0:1], v[4:5]
	v_add_f64 v[25:26], v[6:7], v[2:3]
	v_add_f64 v[27:28], v[0:1], -v[4:5]
	v_add_f64 v[0:1], v[2:3], -v[6:7]
	s_waitcnt vmcnt(2)
	s_delay_alu instid0(VALU_DEP_2) | instskip(NEXT) | instid1(VALU_DEP_2)
	v_fma_f64 v[2:3], v[27:28], v[13:14], v[8:9]
	v_fma_f64 v[4:5], v[25:26], v[13:14], v[0:1]
	v_fma_f64 v[6:7], -v[27:28], v[13:14], v[8:9]
	v_fma_f64 v[8:9], v[25:26], v[13:14], -v[0:1]
	s_delay_alu instid0(VALU_DEP_4) | instskip(NEXT) | instid1(VALU_DEP_4)
	v_fma_f64 v[0:1], -v[25:26], v[11:12], v[2:3]
	v_fma_f64 v[2:3], v[27:28], v[11:12], v[4:5]
	s_delay_alu instid0(VALU_DEP_4) | instskip(NEXT) | instid1(VALU_DEP_4)
	v_fma_f64 v[4:5], v[25:26], v[11:12], v[6:7]
	v_fma_f64 v[6:7], v[27:28], v[11:12], v[8:9]
	v_add_co_u32 v8, s0, 0x2000, v23
	s_delay_alu instid0(VALU_DEP_1)
	v_add_co_ci_u32_e64 v9, s0, 0, v24, s0
	v_cmp_gt_u32_e64 s0, 0x54, v62
	ds_store_b128 v66, v[0:3] offset:4032
	ds_store_b128 v10, v[4:7] offset:24192
	ds_load_b128 v[0:3], v66 offset:6048
	ds_load_b128 v[4:7], v10 offset:22176
	global_load_b128 v[11:14], v[8:9], off offset:1888
	s_waitcnt lgkmcnt(0)
	v_add_f64 v[23:24], v[0:1], v[4:5]
	v_add_f64 v[25:26], v[6:7], v[2:3]
	v_add_f64 v[27:28], v[0:1], -v[4:5]
	v_add_f64 v[0:1], v[2:3], -v[6:7]
	s_waitcnt vmcnt(2)
	s_delay_alu instid0(VALU_DEP_2) | instskip(NEXT) | instid1(VALU_DEP_2)
	v_fma_f64 v[2:3], v[27:28], v[21:22], v[23:24]
	v_fma_f64 v[4:5], v[25:26], v[21:22], v[0:1]
	v_fma_f64 v[6:7], -v[27:28], v[21:22], v[23:24]
	v_fma_f64 v[21:22], v[25:26], v[21:22], -v[0:1]
	s_delay_alu instid0(VALU_DEP_4) | instskip(NEXT) | instid1(VALU_DEP_4)
	v_fma_f64 v[0:1], -v[25:26], v[19:20], v[2:3]
	v_fma_f64 v[2:3], v[27:28], v[19:20], v[4:5]
	s_delay_alu instid0(VALU_DEP_4) | instskip(NEXT) | instid1(VALU_DEP_4)
	v_fma_f64 v[4:5], v[25:26], v[19:20], v[6:7]
	v_fma_f64 v[6:7], v[27:28], v[19:20], v[21:22]
	ds_store_b128 v66, v[0:3] offset:6048
	ds_store_b128 v10, v[4:7] offset:22176
	ds_load_b128 v[0:3], v66 offset:8064
	ds_load_b128 v[4:7], v10 offset:20160
	global_load_b128 v[19:22], v[8:9], off offset:3904
	s_waitcnt lgkmcnt(0)
	v_add_f64 v[8:9], v[0:1], v[4:5]
	v_add_f64 v[23:24], v[6:7], v[2:3]
	v_add_f64 v[25:26], v[0:1], -v[4:5]
	v_add_f64 v[0:1], v[2:3], -v[6:7]
	s_waitcnt vmcnt(2)
	s_delay_alu instid0(VALU_DEP_2) | instskip(NEXT) | instid1(VALU_DEP_2)
	v_fma_f64 v[2:3], v[25:26], v[17:18], v[8:9]
	v_fma_f64 v[4:5], v[23:24], v[17:18], v[0:1]
	v_fma_f64 v[6:7], -v[25:26], v[17:18], v[8:9]
	v_fma_f64 v[8:9], v[23:24], v[17:18], -v[0:1]
	s_delay_alu instid0(VALU_DEP_4) | instskip(NEXT) | instid1(VALU_DEP_4)
	v_fma_f64 v[0:1], -v[23:24], v[15:16], v[2:3]
	v_fma_f64 v[2:3], v[25:26], v[15:16], v[4:5]
	s_delay_alu instid0(VALU_DEP_4) | instskip(NEXT) | instid1(VALU_DEP_4)
	v_fma_f64 v[4:5], v[23:24], v[15:16], v[6:7]
	v_fma_f64 v[6:7], v[25:26], v[15:16], v[8:9]
	ds_store_b128 v66, v[0:3] offset:8064
	ds_store_b128 v10, v[4:7] offset:20160
	ds_load_b128 v[0:3], v66 offset:10080
	ds_load_b128 v[4:7], v10 offset:18144
	s_waitcnt lgkmcnt(0)
	v_add_f64 v[8:9], v[0:1], v[4:5]
	v_add_f64 v[15:16], v[6:7], v[2:3]
	v_add_f64 v[17:18], v[0:1], -v[4:5]
	v_add_f64 v[0:1], v[2:3], -v[6:7]
	s_waitcnt vmcnt(1)
	s_delay_alu instid0(VALU_DEP_2) | instskip(NEXT) | instid1(VALU_DEP_2)
	v_fma_f64 v[2:3], v[17:18], v[13:14], v[8:9]
	v_fma_f64 v[4:5], v[15:16], v[13:14], v[0:1]
	v_fma_f64 v[6:7], -v[17:18], v[13:14], v[8:9]
	v_fma_f64 v[8:9], v[15:16], v[13:14], -v[0:1]
	s_delay_alu instid0(VALU_DEP_4) | instskip(NEXT) | instid1(VALU_DEP_4)
	v_fma_f64 v[0:1], -v[15:16], v[11:12], v[2:3]
	v_fma_f64 v[2:3], v[17:18], v[11:12], v[4:5]
	s_delay_alu instid0(VALU_DEP_4) | instskip(NEXT) | instid1(VALU_DEP_4)
	v_fma_f64 v[4:5], v[15:16], v[11:12], v[6:7]
	v_fma_f64 v[6:7], v[17:18], v[11:12], v[8:9]
	ds_store_b128 v66, v[0:3] offset:10080
	ds_store_b128 v10, v[4:7] offset:18144
	ds_load_b128 v[0:3], v66 offset:12096
	ds_load_b128 v[4:7], v10 offset:16128
	s_waitcnt lgkmcnt(0)
	v_add_f64 v[8:9], v[0:1], v[4:5]
	v_add_f64 v[11:12], v[6:7], v[2:3]
	v_add_f64 v[13:14], v[0:1], -v[4:5]
	v_add_f64 v[0:1], v[2:3], -v[6:7]
	s_waitcnt vmcnt(0)
	s_delay_alu instid0(VALU_DEP_2) | instskip(NEXT) | instid1(VALU_DEP_2)
	v_fma_f64 v[2:3], v[13:14], v[21:22], v[8:9]
	v_fma_f64 v[4:5], v[11:12], v[21:22], v[0:1]
	v_fma_f64 v[6:7], -v[13:14], v[21:22], v[8:9]
	v_fma_f64 v[8:9], v[11:12], v[21:22], -v[0:1]
	s_delay_alu instid0(VALU_DEP_4) | instskip(NEXT) | instid1(VALU_DEP_4)
	v_fma_f64 v[0:1], -v[11:12], v[19:20], v[2:3]
	v_fma_f64 v[2:3], v[13:14], v[19:20], v[4:5]
	s_delay_alu instid0(VALU_DEP_4) | instskip(NEXT) | instid1(VALU_DEP_4)
	v_fma_f64 v[4:5], v[11:12], v[19:20], v[6:7]
	v_fma_f64 v[6:7], v[13:14], v[19:20], v[8:9]
	ds_store_b128 v66, v[0:3] offset:12096
	ds_store_b128 v10, v[4:7] offset:16128
	s_waitcnt lgkmcnt(0)
	s_barrier
	buffer_gl0_inv
	s_barrier
	buffer_gl0_inv
	ds_load_b128 v[0:3], v66 offset:14112
	ds_load_b128 v[4:7], v66
	ds_load_b128 v[8:11], v66 offset:2016
	ds_load_b128 v[12:15], v66 offset:16128
	;; [unrolled: 1-line block ×12, first 2 shown]
	s_waitcnt lgkmcnt(0)
	s_barrier
	buffer_gl0_inv
	v_add_f64 v[0:1], v[4:5], -v[0:1]
	v_add_f64 v[2:3], v[6:7], -v[2:3]
	;; [unrolled: 1-line block ×14, first 2 shown]
	v_fma_f64 v[4:5], v[4:5], 2.0, -v[0:1]
	v_fma_f64 v[6:7], v[6:7], 2.0, -v[2:3]
	;; [unrolled: 1-line block ×14, first 2 shown]
	ds_store_b128 v56, v[4:7]
	ds_store_b128 v56, v[0:3] offset:16
	ds_store_b128 v57, v[8:11]
	ds_store_b128 v57, v[12:15] offset:16
	ds_store_b128 v58, v[20:23]
	ds_store_b128 v58, v[16:19] offset:16
	ds_store_b128 v59, v[24:27]
	ds_store_b128 v59, v[28:31] offset:16
	ds_store_b128 v70, v[36:39]
	ds_store_b128 v70, v[32:35] offset:16
	ds_store_b128 v71, v[40:43]
	ds_store_b128 v71, v[44:47] offset:16
	ds_store_b128 v75, v[48:51]
	ds_store_b128 v75, v[52:55] offset:16
	s_waitcnt lgkmcnt(0)
	s_barrier
	buffer_gl0_inv
	global_load_b128 v[0:3], v76, s[8:9]
	ds_load_b128 v[4:7], v66 offset:14112
	ds_load_b128 v[8:11], v66 offset:16128
	;; [unrolled: 1-line block ×8, first 2 shown]
	s_waitcnt vmcnt(0) lgkmcnt(7)
	v_mul_f64 v[36:37], v[6:7], v[2:3]
	v_mul_f64 v[38:39], v[4:5], v[2:3]
	s_waitcnt lgkmcnt(6)
	v_mul_f64 v[40:41], v[10:11], v[2:3]
	v_mul_f64 v[42:43], v[8:9], v[2:3]
	s_waitcnt lgkmcnt(5)
	;; [unrolled: 3-line block ×6, first 2 shown]
	v_mul_f64 v[70:71], v[30:31], v[2:3]
	v_mul_f64 v[2:3], v[28:29], v[2:3]
	v_fma_f64 v[36:37], v[4:5], v[0:1], v[36:37]
	v_fma_f64 v[38:39], v[6:7], v[0:1], -v[38:39]
	v_fma_f64 v[40:41], v[8:9], v[0:1], v[40:41]
	v_fma_f64 v[42:43], v[10:11], v[0:1], -v[42:43]
	;; [unrolled: 2-line block ×7, first 2 shown]
	ds_load_b128 v[0:3], v66
	ds_load_b128 v[4:7], v66 offset:2016
	ds_load_b128 v[8:11], v66 offset:4032
	;; [unrolled: 1-line block ×5, first 2 shown]
	v_lshlrev_b32_e32 v70, 1, v62
	v_lshlrev_b32_e32 v71, 1, v72
	;; [unrolled: 1-line block ×3, first 2 shown]
	s_waitcnt lgkmcnt(0)
	s_barrier
	buffer_gl0_inv
	v_and_or_b32 v71, 0x5fc, v71, v74
	v_and_or_b32 v72, 0x7fc, v72, v74
	s_delay_alu instid0(VALU_DEP_2) | instskip(NEXT) | instid1(VALU_DEP_2)
	v_lshl_add_u32 v71, v71, 4, 0
	v_lshl_add_u32 v72, v72, 4, 0
	v_add_f64 v[28:29], v[0:1], -v[36:37]
	v_add_f64 v[30:31], v[2:3], -v[38:39]
	;; [unrolled: 1-line block ×14, first 2 shown]
	v_fma_f64 v[56:57], v[0:1], 2.0, -v[28:29]
	v_fma_f64 v[58:59], v[2:3], 2.0, -v[30:31]
	;; [unrolled: 1-line block ×14, first 2 shown]
	v_lshlrev_b32_e32 v32, 1, v63
	v_lshlrev_b32_e32 v33, 1, v69
	;; [unrolled: 1-line block ×3, first 2 shown]
	v_and_or_b32 v34, 0xfc, v70, v74
	v_lshlrev_b32_e32 v70, 1, v67
	v_and_or_b32 v32, 0x1fc, v32, v74
	v_and_or_b32 v33, 0x3fc, v33, v74
	v_and_or_b32 v35, 0x3fc, v35, v74
	v_lshl_add_u32 v34, v34, 4, 0
	v_and_or_b32 v70, 0x7fc, v70, v74
	v_lshl_add_u32 v32, v32, 4, 0
	v_lshl_add_u32 v33, v33, 4, 0
	;; [unrolled: 1-line block ×3, first 2 shown]
	s_delay_alu instid0(VALU_DEP_4)
	v_lshl_add_u32 v70, v70, 4, 0
	ds_store_b128 v34, v[56:59]
	ds_store_b128 v34, v[28:31] offset:32
	ds_store_b128 v32, v[4:7]
	ds_store_b128 v32, v[36:39] offset:32
	;; [unrolled: 2-line block ×7, first 2 shown]
	s_waitcnt lgkmcnt(0)
	s_barrier
	buffer_gl0_inv
	ds_load_b128 v[12:15], v66
	ds_load_b128 v[4:7], v66 offset:2016
	ds_load_b128 v[48:51], v66 offset:9408
	;; [unrolled: 1-line block ×11, first 2 shown]
                                        ; implicit-def: $vgpr54_vgpr55
	s_and_saveexec_b32 s1, s0
	s_cbranch_execz .LBB0_21
; %bb.20:
	ds_load_b128 v[0:3], v66 offset:8064
	ds_load_b128 v[20:23], v66 offset:17472
	ds_load_b128 v[52:55], v66 offset:26880
.LBB0_21:
	s_or_b32 exec_lo, exec_lo, s1
	v_and_b32_e32 v119, 3, v68
	v_and_b32_e32 v70, 3, v62
	;; [unrolled: 1-line block ×3, first 2 shown]
	s_mov_b32 s4, 0xe8584caa
	s_mov_b32 s5, 0xbfebb67a
	v_lshlrev_b32_e32 v91, 5, v119
	v_lshlrev_b32_e32 v79, 5, v70
	;; [unrolled: 1-line block ×3, first 2 shown]
	s_mov_b32 s11, 0x3febb67a
	s_mov_b32 s10, s4
	s_clause 0x6
	global_load_b128 v[71:74], v91, s[8:9] offset:48
	global_load_b128 v[75:78], v79, s[8:9] offset:32
	;; [unrolled: 1-line block ×5, first 2 shown]
	global_load_b64 v[91:92], v91, s[8:9] offset:56
	global_load_b64 v[93:94], v93, s[8:9] offset:32
	s_waitcnt vmcnt(0) lgkmcnt(0)
	s_barrier
	buffer_gl0_inv
	v_mul_f64 v[97:98], v[50:51], v[77:78]
	v_mul_f64 v[99:100], v[48:49], v[77:78]
	;; [unrolled: 1-line block ×14, first 2 shown]
	v_fma_f64 v[48:49], v[48:49], v[75:76], v[97:98]
	v_mul_f64 v[97:98], v[54:55], v[81:82]
	v_fma_f64 v[50:51], v[50:51], v[75:76], -v[99:100]
	v_fma_f64 v[56:57], v[56:57], v[85:86], v[95:96]
	v_fma_f64 v[58:59], v[58:59], v[85:86], -v[73:74]
	v_mul_f64 v[73:74], v[46:47], v[81:82]
	v_mul_f64 v[85:86], v[44:45], v[81:82]
	;; [unrolled: 1-line block ×5, first 2 shown]
	v_fma_f64 v[24:25], v[24:25], v[93:94], v[107:108]
	v_fma_f64 v[26:27], v[26:27], v[93:94], -v[89:90]
	v_fma_f64 v[28:29], v[28:29], v[87:88], v[105:106]
	v_fma_f64 v[30:31], v[30:31], v[87:88], -v[83:84]
	;; [unrolled: 2-line block ×5, first 2 shown]
	v_fma_f64 v[52:53], v[52:53], v[79:80], v[97:98]
	v_add_f64 v[93:94], v[14:15], v[50:51]
	v_fma_f64 v[44:45], v[44:45], v[79:80], v[73:74]
	v_fma_f64 v[46:47], v[46:47], v[79:80], -v[85:86]
	v_fma_f64 v[32:33], v[32:33], v[71:72], v[95:96]
	v_fma_f64 v[34:35], v[34:35], v[71:72], -v[91:92]
	v_fma_f64 v[54:55], v[54:55], v[79:80], -v[81:82]
	v_add_f64 v[75:76], v[24:25], v[56:57]
	v_add_f64 v[77:78], v[26:27], v[58:59]
	;; [unrolled: 1-line block ×11, first 2 shown]
	v_add_f64 v[111:112], v[26:27], -v[58:59]
	v_add_f64 v[50:51], v[50:51], -v[42:43]
	;; [unrolled: 1-line block ×3, first 2 shown]
	v_add_f64 v[99:100], v[16:17], v[36:37]
	v_add_f64 v[101:102], v[18:19], v[38:39]
	;; [unrolled: 1-line block ×3, first 2 shown]
	v_add_f64 v[117:118], v[20:21], -v[52:53]
	v_add_f64 v[79:80], v[36:37], v[44:45]
	v_add_f64 v[81:82], v[38:39], v[46:47]
	v_add_f64 v[83:84], v[28:29], v[32:33]
	v_add_f64 v[85:86], v[30:31], v[34:35]
	v_add_f64 v[89:90], v[22:23], v[54:55]
	v_fma_f64 v[4:5], v[75:76], -0.5, v[4:5]
	v_add_f64 v[75:76], v[24:25], -v[56:57]
	v_fma_f64 v[6:7], v[77:78], -0.5, v[6:7]
	v_add_f64 v[115:116], v[30:31], -v[34:35]
	v_add_f64 v[77:78], v[38:39], -v[46:47]
	;; [unrolled: 1-line block ×3, first 2 shown]
	v_fma_f64 v[71:72], v[71:72], -0.5, v[12:13]
	v_fma_f64 v[73:74], v[73:74], -0.5, v[14:15]
	v_add_f64 v[12:13], v[91:92], v[40:41]
	v_add_f64 v[14:15], v[93:94], v[42:43]
	;; [unrolled: 1-line block ×5, first 2 shown]
	v_fma_f64 v[87:88], v[87:88], -0.5, v[0:1]
	v_add_f64 v[0:1], v[107:108], v[52:53]
	v_fma_f64 v[79:80], v[79:80], -0.5, v[16:17]
	v_fma_f64 v[81:82], v[81:82], -0.5, v[18:19]
	;; [unrolled: 1-line block ×3, first 2 shown]
	v_add_f64 v[83:84], v[28:29], -v[32:33]
	v_fma_f64 v[10:11], v[85:86], -0.5, v[10:11]
	v_add_f64 v[85:86], v[22:23], -v[54:55]
	v_fma_f64 v[89:90], v[89:90], -0.5, v[2:3]
	v_add_f64 v[16:17], v[95:96], v[56:57]
	v_add_f64 v[18:19], v[97:98], v[58:59]
	v_add_f64 v[2:3], v[109:110], v[54:55]
	v_fma_f64 v[36:37], v[111:112], s[4:5], v[4:5]
	v_fma_f64 v[40:41], v[111:112], s[10:11], v[4:5]
	;; [unrolled: 1-line block ×8, first 2 shown]
	v_add_f64 v[22:23], v[101:102], v[46:47]
	v_lshrrev_b32_e32 v71, 2, v62
	v_lshrrev_b32_e32 v72, 2, v63
	;; [unrolled: 1-line block ×4, first 2 shown]
	s_delay_alu instid0(VALU_DEP_4) | instskip(NEXT) | instid1(VALU_DEP_4)
	v_mul_u32_u24_e32 v71, 12, v71
	v_mul_u32_u24_e32 v72, 12, v72
	s_delay_alu instid0(VALU_DEP_4) | instskip(NEXT) | instid1(VALU_DEP_4)
	v_mul_u32_u24_e32 v73, 12, v73
	v_mul_u32_u24_e32 v74, 12, v74
	s_delay_alu instid0(VALU_DEP_4) | instskip(NEXT) | instid1(VALU_DEP_4)
	v_or_b32_e32 v71, v71, v70
	v_or_b32_e32 v72, v72, v120
	s_delay_alu instid0(VALU_DEP_4) | instskip(NEXT) | instid1(VALU_DEP_4)
	v_or_b32_e32 v73, v73, v70
	v_or_b32_e32 v74, v74, v119
	s_delay_alu instid0(VALU_DEP_4) | instskip(NEXT) | instid1(VALU_DEP_4)
	v_lshl_add_u32 v71, v71, 4, 0
	v_lshl_add_u32 v72, v72, 4, 0
	s_delay_alu instid0(VALU_DEP_4) | instskip(NEXT) | instid1(VALU_DEP_4)
	v_lshl_add_u32 v73, v73, 4, 0
	v_lshl_add_u32 v74, v74, 4, 0
	v_fma_f64 v[44:45], v[77:78], s[4:5], v[79:80]
	v_fma_f64 v[46:47], v[113:114], s[10:11], v[81:82]
	;; [unrolled: 1-line block ×12, first 2 shown]
	ds_store_b128 v71, v[12:15]
	ds_store_b128 v71, v[28:31] offset:64
	ds_store_b128 v71, v[32:35] offset:128
	ds_store_b128 v72, v[16:19]
	ds_store_b128 v72, v[36:39] offset:64
	ds_store_b128 v72, v[40:43] offset:128
	;; [unrolled: 3-line block ×4, first 2 shown]
	s_and_saveexec_b32 s1, s0
	s_cbranch_execz .LBB0_23
; %bb.22:
	v_lshrrev_b32_e32 v12, 2, v67
	s_delay_alu instid0(VALU_DEP_1) | instskip(NEXT) | instid1(VALU_DEP_1)
	v_mul_u32_u24_e32 v12, 12, v12
	v_or_b32_e32 v12, v12, v70
	s_delay_alu instid0(VALU_DEP_1)
	v_lshl_add_u32 v12, v12, 4, 0
	ds_store_b128 v12, v[0:3]
	ds_store_b128 v12, v[4:7] offset:64
	ds_store_b128 v12, v[8:11] offset:128
.LBB0_23:
	s_or_b32 exec_lo, exec_lo, s1
	s_waitcnt lgkmcnt(0)
	s_barrier
	buffer_gl0_inv
	ds_load_b128 v[20:23], v66
	ds_load_b128 v[16:19], v66 offset:2016
	ds_load_b128 v[56:59], v66 offset:9408
	;; [unrolled: 1-line block ×11, first 2 shown]
	s_and_saveexec_b32 s1, s0
	s_cbranch_execz .LBB0_25
; %bb.24:
	ds_load_b128 v[0:3], v66 offset:8064
	ds_load_b128 v[4:7], v66 offset:17472
	;; [unrolled: 1-line block ×3, first 2 shown]
.LBB0_25:
	s_or_b32 exec_lo, exec_lo, s1
	v_and_b32_e32 v71, 0xff, v62
	v_and_b32_e32 v77, 0xffff, v69
	;; [unrolled: 1-line block ×3, first 2 shown]
	s_mov_b32 s10, s4
	s_delay_alu instid0(VALU_DEP_3) | instskip(NEXT) | instid1(VALU_DEP_3)
	v_mul_lo_u16 v70, 0xab, v71
	v_mul_u32_u24_e32 v81, 0xaaab, v77
	s_delay_alu instid0(VALU_DEP_3) | instskip(NEXT) | instid1(VALU_DEP_3)
	v_mul_u32_u24_e32 v80, 0xaaab, v80
	v_lshrrev_b16 v114, 11, v70
	s_delay_alu instid0(VALU_DEP_3) | instskip(NEXT) | instid1(VALU_DEP_3)
	v_lshrrev_b32_e32 v117, 19, v81
	v_lshrrev_b32_e32 v118, 19, v80
	s_delay_alu instid0(VALU_DEP_3) | instskip(NEXT) | instid1(VALU_DEP_3)
	v_mul_lo_u16 v70, v114, 12
	v_mul_lo_u16 v80, v117, 12
	s_delay_alu instid0(VALU_DEP_3) | instskip(NEXT) | instid1(VALU_DEP_3)
	v_mul_lo_u16 v82, v118, 12
	v_sub_nc_u16 v70, v62, v70
	s_delay_alu instid0(VALU_DEP_3) | instskip(NEXT) | instid1(VALU_DEP_3)
	v_sub_nc_u16 v69, v69, v80
	v_sub_nc_u16 v68, v68, v82
	s_delay_alu instid0(VALU_DEP_3) | instskip(SKIP_1) | instid1(VALU_DEP_4)
	v_and_b32_e32 v115, 0xff, v70
	v_and_b32_e32 v70, 0xff, v63
	;; [unrolled: 1-line block ×3, first 2 shown]
	s_delay_alu instid0(VALU_DEP_4) | instskip(NEXT) | instid1(VALU_DEP_4)
	v_and_b32_e32 v121, 0xffff, v68
	v_lshlrev_b32_e32 v76, 5, v115
	s_delay_alu instid0(VALU_DEP_4) | instskip(NEXT) | instid1(VALU_DEP_4)
	v_mul_lo_u16 v78, 0xab, v70
	v_lshlrev_b32_e32 v68, 5, v120
	global_load_b128 v[72:75], v76, s[8:9] offset:160
	v_lshrrev_b16 v116, 11, v78
	global_load_b128 v[76:79], v76, s[8:9] offset:176
	v_mul_lo_u16 v81, v116, 12
	s_delay_alu instid0(VALU_DEP_1) | instskip(NEXT) | instid1(VALU_DEP_1)
	v_sub_nc_u16 v81, v63, v81
	v_and_b32_e32 v119, 0xff, v81
	s_delay_alu instid0(VALU_DEP_1)
	v_lshlrev_b32_e32 v69, 5, v119
	s_clause 0x2
	global_load_b128 v[80:83], v69, s[8:9] offset:160
	global_load_b128 v[84:87], v69, s[8:9] offset:176
	;; [unrolled: 1-line block ×3, first 2 shown]
	v_lshlrev_b32_e32 v69, 5, v121
	s_clause 0x2
	global_load_b128 v[92:95], v68, s[8:9] offset:176
	global_load_b128 v[96:99], v69, s[8:9] offset:160
	global_load_b128 v[100:103], v69, s[8:9] offset:176
	s_waitcnt vmcnt(0) lgkmcnt(0)
	s_barrier
	buffer_gl0_inv
	v_mul_f64 v[68:69], v[58:59], v[74:75]
	v_mul_f64 v[74:75], v[56:57], v[74:75]
	;; [unrolled: 1-line block ×11, first 2 shown]
	v_fma_f64 v[56:57], v[56:57], v[72:73], v[68:69]
	v_mul_f64 v[68:69], v[48:49], v[94:95]
	v_fma_f64 v[58:59], v[58:59], v[72:73], -v[74:75]
	v_mul_f64 v[72:73], v[34:35], v[98:99]
	v_mul_f64 v[74:75], v[42:43], v[102:103]
	;; [unrolled: 1-line block ×3, first 2 shown]
	v_fma_f64 v[52:53], v[52:53], v[76:77], v[104:105]
	v_fma_f64 v[54:55], v[54:55], v[76:77], -v[78:79]
	v_mul_f64 v[76:77], v[40:41], v[102:103]
	v_fma_f64 v[28:29], v[28:29], v[80:81], v[106:107]
	v_fma_f64 v[30:31], v[30:31], v[80:81], -v[82:83]
	v_fma_f64 v[36:37], v[36:37], v[84:85], v[108:109]
	v_fma_f64 v[38:39], v[38:39], v[84:85], -v[86:87]
	;; [unrolled: 2-line block ×3, first 2 shown]
	v_fma_f64 v[48:49], v[48:49], v[92:93], v[112:113]
	v_add_f64 v[86:87], v[20:21], v[56:57]
	v_fma_f64 v[50:51], v[50:51], v[92:93], -v[68:69]
	v_fma_f64 v[32:33], v[32:33], v[96:97], v[72:73]
	v_fma_f64 v[40:41], v[40:41], v[100:101], v[74:75]
	v_fma_f64 v[34:35], v[34:35], v[96:97], -v[94:95]
	v_add_f64 v[68:69], v[56:57], v[52:53]
	v_add_f64 v[72:73], v[58:59], v[54:55]
	v_fma_f64 v[42:43], v[42:43], v[100:101], -v[76:77]
	v_add_f64 v[88:89], v[58:59], -v[54:55]
	v_add_f64 v[58:59], v[22:23], v[58:59]
	v_add_f64 v[56:57], v[56:57], -v[52:53]
	v_add_f64 v[90:91], v[16:17], v[28:29]
	v_add_f64 v[92:93], v[18:19], v[30:31]
	;; [unrolled: 1-line block ×4, first 2 shown]
	v_add_f64 v[102:103], v[30:31], -v[38:39]
	v_add_f64 v[104:105], v[28:29], -v[36:37]
	v_add_f64 v[78:79], v[44:45], v[48:49]
	v_add_f64 v[94:95], v[24:25], v[44:45]
	v_add_f64 v[96:97], v[26:27], v[46:47]
	v_add_f64 v[106:107], v[44:45], -v[48:49]
	v_add_f64 v[80:81], v[46:47], v[50:51]
	v_add_f64 v[46:47], v[46:47], -v[50:51]
	v_add_f64 v[98:99], v[12:13], v[32:33]
	v_add_f64 v[82:83], v[32:33], v[40:41]
	;; [unrolled: 1-line block ×3, first 2 shown]
	v_fma_f64 v[68:69], v[68:69], -0.5, v[20:21]
	v_fma_f64 v[72:73], v[72:73], -0.5, v[22:23]
	v_add_f64 v[84:85], v[34:35], v[42:43]
	v_add_f64 v[108:109], v[34:35], -v[42:43]
	v_add_f64 v[110:111], v[32:33], -v[40:41]
	v_fma_f64 v[74:75], v[74:75], -0.5, v[16:17]
	v_fma_f64 v[76:77], v[76:77], -0.5, v[18:19]
	v_add_f64 v[16:17], v[90:91], v[36:37]
	v_add_f64 v[18:19], v[92:93], v[38:39]
	v_fma_f64 v[78:79], v[78:79], -0.5, v[24:25]
	v_add_f64 v[20:21], v[94:95], v[48:49]
	v_add_f64 v[22:23], v[96:97], v[50:51]
	v_fma_f64 v[80:81], v[80:81], -0.5, v[26:27]
	v_add_f64 v[24:25], v[98:99], v[40:41]
	v_fma_f64 v[82:83], v[82:83], -0.5, v[12:13]
	v_add_f64 v[12:13], v[86:87], v[52:53]
	v_fma_f64 v[28:29], v[88:89], s[4:5], v[68:69]
	v_fma_f64 v[30:31], v[56:57], s[10:11], v[72:73]
	v_fma_f64 v[84:85], v[84:85], -0.5, v[14:15]
	v_add_f64 v[14:15], v[58:59], v[54:55]
	v_fma_f64 v[32:33], v[88:89], s[10:11], v[68:69]
	v_fma_f64 v[34:35], v[56:57], s[4:5], v[72:73]
	v_add_f64 v[26:27], v[100:101], v[42:43]
	v_and_b32_e32 v68, 0xffff, v114
	v_and_b32_e32 v69, 0xffff, v116
	v_mul_u32_u24_e32 v72, 0x240, v117
	v_mul_u32_u24_e32 v73, 0x240, v118
	s_delay_alu instid0(VALU_DEP_4) | instskip(NEXT) | instid1(VALU_DEP_4)
	v_mul_u32_u24_e32 v68, 0x240, v68
	v_mul_u32_u24_e32 v69, 0x240, v69
	v_fma_f64 v[36:37], v[102:103], s[4:5], v[74:75]
	v_fma_f64 v[38:39], v[104:105], s[10:11], v[76:77]
	;; [unrolled: 1-line block ×6, first 2 shown]
	v_lshlrev_b32_e32 v74, 4, v115
	v_lshlrev_b32_e32 v75, 4, v119
	;; [unrolled: 1-line block ×4, first 2 shown]
	s_delay_alu instid0(VALU_DEP_4) | instskip(NEXT) | instid1(VALU_DEP_4)
	v_add3_u32 v68, 0, v68, v74
	v_add3_u32 v69, 0, v69, v75
	v_fma_f64 v[46:47], v[106:107], s[10:11], v[80:81]
	v_fma_f64 v[50:51], v[106:107], s[4:5], v[80:81]
	v_add3_u32 v72, 0, v72, v76
	v_fma_f64 v[52:53], v[108:109], s[4:5], v[82:83]
	v_fma_f64 v[56:57], v[108:109], s[10:11], v[82:83]
	;; [unrolled: 3-line block ×3, first 2 shown]
	ds_store_b128 v68, v[12:15]
	ds_store_b128 v68, v[28:31] offset:192
	ds_store_b128 v68, v[32:35] offset:384
	ds_store_b128 v69, v[16:19]
	ds_store_b128 v69, v[36:39] offset:192
	ds_store_b128 v69, v[40:43] offset:384
	;; [unrolled: 3-line block ×4, first 2 shown]
	s_and_saveexec_b32 s1, s0
	s_cbranch_execz .LBB0_27
; %bb.26:
	v_and_b32_e32 v12, 0xffff, v67
	s_delay_alu instid0(VALU_DEP_1) | instskip(NEXT) | instid1(VALU_DEP_1)
	v_mul_u32_u24_e32 v12, 0xaaab, v12
	v_lshrrev_b32_e32 v24, 19, v12
	s_delay_alu instid0(VALU_DEP_1) | instskip(NEXT) | instid1(VALU_DEP_1)
	v_mul_lo_u16 v12, v24, 12
	v_sub_nc_u16 v12, v67, v12
	s_delay_alu instid0(VALU_DEP_1) | instskip(NEXT) | instid1(VALU_DEP_1)
	v_and_b32_e32 v25, 0xffff, v12
	v_lshlrev_b32_e32 v16, 5, v25
	s_clause 0x1
	global_load_b128 v[12:15], v16, s[8:9] offset:160
	global_load_b128 v[16:19], v16, s[8:9] offset:176
	s_waitcnt vmcnt(1)
	v_mul_f64 v[20:21], v[4:5], v[14:15]
	s_waitcnt vmcnt(0)
	v_mul_f64 v[22:23], v[8:9], v[18:19]
	v_mul_f64 v[14:15], v[6:7], v[14:15]
	;; [unrolled: 1-line block ×3, first 2 shown]
	s_delay_alu instid0(VALU_DEP_4) | instskip(NEXT) | instid1(VALU_DEP_4)
	v_fma_f64 v[6:7], v[6:7], v[12:13], -v[20:21]
	v_fma_f64 v[10:11], v[10:11], v[16:17], -v[22:23]
	s_delay_alu instid0(VALU_DEP_4) | instskip(NEXT) | instid1(VALU_DEP_4)
	v_fma_f64 v[4:5], v[4:5], v[12:13], v[14:15]
	v_fma_f64 v[8:9], v[8:9], v[16:17], v[18:19]
	s_delay_alu instid0(VALU_DEP_4) | instskip(NEXT) | instid1(VALU_DEP_4)
	v_add_f64 v[18:19], v[2:3], v[6:7]
	v_add_f64 v[12:13], v[6:7], v[10:11]
	v_add_f64 v[20:21], v[6:7], -v[10:11]
	s_delay_alu instid0(VALU_DEP_4)
	v_add_f64 v[14:15], v[4:5], v[8:9]
	v_add_f64 v[16:17], v[4:5], -v[8:9]
	v_add_f64 v[4:5], v[0:1], v[4:5]
	v_fma_f64 v[12:13], v[12:13], -0.5, v[2:3]
	v_add_f64 v[2:3], v[18:19], v[10:11]
	v_fma_f64 v[14:15], v[14:15], -0.5, v[0:1]
	s_delay_alu instid0(VALU_DEP_4) | instskip(NEXT) | instid1(VALU_DEP_4)
	v_add_f64 v[0:1], v[4:5], v[8:9]
	v_fma_f64 v[10:11], v[16:17], s[10:11], v[12:13]
	v_fma_f64 v[6:7], v[16:17], s[4:5], v[12:13]
	s_delay_alu instid0(VALU_DEP_4) | instskip(SKIP_3) | instid1(VALU_DEP_2)
	v_fma_f64 v[8:9], v[20:21], s[4:5], v[14:15]
	v_fma_f64 v[4:5], v[20:21], s[10:11], v[14:15]
	v_mul_lo_u16 v12, v24, 36
	v_lshlrev_b32_e32 v13, 4, v25
	v_and_b32_e32 v12, 0xffff, v12
	s_delay_alu instid0(VALU_DEP_1) | instskip(NEXT) | instid1(VALU_DEP_1)
	v_lshlrev_b32_e32 v12, 4, v12
	v_add3_u32 v12, 0, v13, v12
	ds_store_b128 v12, v[0:3]
	ds_store_b128 v12, v[8:11] offset:192
	ds_store_b128 v12, v[4:7] offset:384
.LBB0_27:
	s_or_b32 exec_lo, exec_lo, s1
	v_mul_lo_u16 v0, v71, 57
	v_mul_lo_u16 v2, v70, 57
	s_waitcnt lgkmcnt(0)
	s_barrier
	buffer_gl0_inv
	v_lshrrev_b16 v0, 11, v0
	v_lshrrev_b16 v2, 11, v2
	s_mov_b32 s14, 0x37e14327
	s_mov_b32 s4, 0x36b3c0b5
	;; [unrolled: 1-line block ×3, first 2 shown]
	v_mul_lo_u16 v1, v0, 36
	v_mul_lo_u16 v4, v2, 36
	s_mov_b32 s15, 0x3fe948f6
	s_mov_b32 s5, 0x3fac98ee
	;; [unrolled: 1-line block ×3, first 2 shown]
	v_sub_nc_u16 v1, v62, v1
	s_mov_b32 s10, 0x429ad128
	s_mov_b32 s11, 0xbfebfeb5
	;; [unrolled: 1-line block ×4, first 2 shown]
	v_and_b32_e32 v1, 0xff, v1
	s_mov_b32 s24, 0xb247c609
	s_mov_b32 s13, 0xbff2aaaa
	;; [unrolled: 1-line block ×4, first 2 shown]
	v_mul_u32_u24_e32 v3, 6, v1
	s_mov_b32 s21, 0xbfe77f67
	s_mov_b32 s23, 0x3fd5d0dc
	;; [unrolled: 1-line block ×4, first 2 shown]
	v_lshlrev_b32_e32 v40, 4, v3
	v_sub_nc_u16 v3, v63, v4
	s_mov_b32 s26, 0x37c3f68c
	s_mov_b32 s27, 0xbfdc38aa
	v_mul_u32_u24_e32 v63, 6, v62
	global_load_b128 v[4:7], v40, s[8:9] offset:544
	v_and_b32_e32 v3, 0xff, v3
	s_clause 0x2
	global_load_b128 v[8:11], v40, s[8:9] offset:560
	global_load_b128 v[12:15], v40, s[8:9] offset:624
	;; [unrolled: 1-line block ×3, first 2 shown]
	v_and_b32_e32 v0, 0xffff, v0
	v_and_b32_e32 v2, 0xffff, v2
	v_lshlrev_b32_e32 v63, 4, v63
	v_mul_u32_u24_e32 v20, 6, v3
	v_lshlrev_b32_e32 v1, 4, v1
	v_mul_u32_u24_e32 v0, 0xfc0, v0
	v_mul_u32_u24_e32 v2, 0xfc0, v2
	v_lshlrev_b32_e32 v3, 4, v3
	v_lshlrev_b32_e32 v48, 4, v20
	s_clause 0x7
	global_load_b128 v[20:23], v48, s[8:9] offset:544
	global_load_b128 v[24:27], v48, s[8:9] offset:560
	;; [unrolled: 1-line block ×8, first 2 shown]
	ds_load_b128 v[52:55], v66 offset:4032
	ds_load_b128 v[56:59], v66 offset:8064
	;; [unrolled: 1-line block ×12, first 2 shown]
	v_add3_u32 v0, 0, v0, v1
	v_add3_u32 v1, 0, v2, v3
	s_waitcnt vmcnt(10) lgkmcnt(10)
	v_mul_f64 v[109:110], v[58:59], v[10:11]
	v_mul_f64 v[107:108], v[54:55], v[6:7]
	v_mul_f64 v[6:7], v[52:53], v[6:7]
	v_mul_f64 v[10:11], v[56:57], v[10:11]
	s_waitcnt vmcnt(9) lgkmcnt(9)
	v_mul_f64 v[111:112], v[69:70], v[14:15]
	v_mul_f64 v[14:15], v[67:68], v[14:15]
	s_waitcnt vmcnt(8) lgkmcnt(8)
	v_mul_f64 v[113:114], v[73:74], v[18:19]
	v_mul_f64 v[18:19], v[71:72], v[18:19]
	;; [unrolled: 3-line block ×7, first 2 shown]
	v_fma_f64 v[52:53], v[52:53], v[4:5], v[107:108]
	v_fma_f64 v[4:5], v[54:55], v[4:5], -v[6:7]
	s_waitcnt vmcnt(2) lgkmcnt(2)
	v_mul_f64 v[6:7], v[97:98], v[42:43]
	v_mul_f64 v[42:43], v[95:96], v[42:43]
	v_fma_f64 v[54:55], v[56:57], v[8:9], v[109:110]
	v_fma_f64 v[8:9], v[58:59], v[8:9], -v[10:11]
	v_fma_f64 v[10:11], v[67:68], v[12:13], v[111:112]
	v_fma_f64 v[12:13], v[69:70], v[12:13], -v[14:15]
	;; [unrolled: 2-line block ×3, first 2 shown]
	s_waitcnt vmcnt(1) lgkmcnt(1)
	v_mul_f64 v[18:19], v[101:102], v[46:47]
	v_mul_f64 v[46:47], v[99:100], v[46:47]
	s_waitcnt vmcnt(0) lgkmcnt(0)
	v_mul_f64 v[56:57], v[105:106], v[50:51]
	v_mul_f64 v[50:51], v[103:104], v[50:51]
	v_fma_f64 v[58:59], v[75:76], v[20:21], v[115:116]
	v_fma_f64 v[20:21], v[77:78], v[20:21], -v[22:23]
	v_fma_f64 v[22:23], v[79:80], v[24:25], v[117:118]
	v_fma_f64 v[24:25], v[81:82], v[24:25], -v[26:27]
	;; [unrolled: 2-line block ×6, first 2 shown]
	v_add_f64 v[40:41], v[52:53], v[10:11]
	v_add_f64 v[42:43], v[4:5], v[12:13]
	v_add_f64 v[67:68], v[54:55], v[14:15]
	v_add_f64 v[69:70], v[8:9], v[16:17]
	v_fma_f64 v[18:19], v[99:100], v[44:45], v[18:19]
	v_fma_f64 v[44:45], v[101:102], v[44:45], -v[46:47]
	v_fma_f64 v[46:47], v[103:104], v[48:49], v[56:57]
	v_fma_f64 v[48:49], v[105:106], v[48:49], -v[50:51]
	v_add_f64 v[14:15], v[54:55], -v[14:15]
	v_add_f64 v[16:17], v[8:9], -v[16:17]
	;; [unrolled: 1-line block ×3, first 2 shown]
	v_add_f64 v[50:51], v[58:59], v[26:27]
	v_add_f64 v[56:57], v[20:21], v[28:29]
	;; [unrolled: 1-line block ×4, first 2 shown]
	v_add_f64 v[22:23], v[22:23], -v[30:31]
	v_add_f64 v[24:25], v[24:25], -v[32:33]
	;; [unrolled: 1-line block ×4, first 2 shown]
	v_add_f64 v[75:76], v[34:35], v[6:7]
	v_add_f64 v[77:78], v[36:37], v[38:39]
	v_add_f64 v[34:35], v[6:7], -v[34:35]
	v_add_f64 v[36:37], v[38:39], -v[36:37]
	;; [unrolled: 1-line block ×3, first 2 shown]
	ds_load_b128 v[4:7], v66
	ds_load_b128 v[8:11], v66 offset:2016
	v_add_f64 v[52:53], v[67:68], v[40:41]
	v_add_f64 v[54:55], v[69:70], v[42:43]
	s_waitcnt lgkmcnt(0)
	s_barrier
	v_add_f64 v[30:31], v[18:19], v[46:47]
	v_add_f64 v[32:33], v[44:45], v[48:49]
	v_add_f64 v[18:19], v[46:47], -v[18:19]
	v_add_f64 v[44:45], v[48:49], -v[44:45]
	;; [unrolled: 1-line block ×3, first 2 shown]
	buffer_gl0_inv
	v_add_f64 v[28:29], v[71:72], v[50:51]
	v_add_f64 v[46:47], v[73:74], v[56:57]
	v_add_f64 v[97:98], v[24:25], -v[20:21]
	v_add_f64 v[95:96], v[22:23], -v[26:27]
	;; [unrolled: 1-line block ×8, first 2 shown]
	v_add_f64 v[52:53], v[75:76], v[52:53]
	v_add_f64 v[54:55], v[77:78], v[54:55]
	v_add_f64 v[87:88], v[14:15], -v[38:39]
	v_add_f64 v[40:41], v[67:68], -v[40:41]
	;; [unrolled: 1-line block ×7, first 2 shown]
	v_add_f64 v[14:15], v[34:35], v[14:15]
	v_add_f64 v[16:17], v[36:37], v[16:17]
	v_add_f64 v[34:35], v[38:39], -v[34:35]
	v_add_f64 v[28:29], v[30:31], v[28:29]
	v_add_f64 v[46:47], v[32:33], v[46:47]
	v_add_f64 v[30:31], v[30:31], -v[71:72]
	v_add_f64 v[32:33], v[32:33], -v[73:74]
	;; [unrolled: 1-line block ×3, first 2 shown]
	v_add_f64 v[22:23], v[18:19], v[22:23]
	v_add_f64 v[24:25], v[44:45], v[24:25]
	v_mul_f64 v[101:102], v[89:90], s[10:11]
	v_add_f64 v[18:19], v[26:27], -v[18:19]
	v_add_f64 v[44:45], v[20:21], -v[44:45]
	v_mul_f64 v[103:104], v[95:96], s[10:11]
	v_mul_f64 v[105:106], v[97:98], s[10:11]
	v_add_f64 v[50:51], v[71:72], -v[50:51]
	v_add_f64 v[56:57], v[73:74], -v[56:57]
	v_mul_f64 v[48:49], v[48:49], s[14:15]
	v_mul_f64 v[58:59], v[58:59], s[14:15]
	;; [unrolled: 1-line block ×6, first 2 shown]
	v_add_f64 v[4:5], v[4:5], v[52:53]
	v_add_f64 v[6:7], v[6:7], v[54:55]
	v_mul_f64 v[99:100], v[87:88], s[10:11]
	v_mul_f64 v[75:76], v[75:76], s[14:15]
	;; [unrolled: 1-line block ×5, first 2 shown]
	v_add_f64 v[14:15], v[14:15], v[38:39]
	v_add_f64 v[12:13], v[16:17], v[12:13]
	;; [unrolled: 1-line block ×4, first 2 shown]
	v_mul_f64 v[71:72], v[30:31], s[4:5]
	v_mul_f64 v[73:74], v[32:33], s[4:5]
	v_add_f64 v[16:17], v[22:23], v[26:27]
	v_add_f64 v[20:21], v[24:25], v[20:21]
	v_fma_f64 v[22:23], v[79:80], s[4:5], v[48:49]
	v_fma_f64 v[24:25], v[81:82], s[4:5], v[58:59]
	v_fma_f64 v[26:27], v[40:41], s[16:17], -v[67:68]
	v_fma_f64 v[38:39], v[42:43], s[16:17], -v[69:70]
	v_fma_f64 v[67:68], v[34:35], s[24:25], v[83:84]
	v_fma_f64 v[69:70], v[36:37], s[24:25], v[85:86]
	v_fma_f64 v[79:80], v[87:88], s[10:11], -v[83:84]
	v_fma_f64 v[81:82], v[89:90], s[10:11], -v[85:86]
	;; [unrolled: 4-line block ×3, first 2 shown]
	v_fma_f64 v[40:41], v[40:41], s[20:21], -v[48:49]
	v_fma_f64 v[42:43], v[42:43], s[20:21], -v[58:59]
	v_fma_f64 v[30:31], v[30:31], s[4:5], v[75:76]
	v_fma_f64 v[32:33], v[32:33], s[4:5], v[77:78]
	;; [unrolled: 1-line block ×4, first 2 shown]
	v_fma_f64 v[85:86], v[97:98], s[10:11], -v[93:94]
	v_fma_f64 v[28:29], v[28:29], s[12:13], v[8:9]
	v_fma_f64 v[46:47], v[46:47], s[12:13], v[10:11]
	v_fma_f64 v[83:84], v[95:96], s[10:11], -v[91:92]
	v_fma_f64 v[18:19], v[18:19], s[22:23], -v[103:104]
	;; [unrolled: 1-line block ×7, first 2 shown]
	v_fma_f64 v[67:68], v[14:15], s[26:27], v[67:68]
	v_fma_f64 v[69:70], v[12:13], s[26:27], v[69:70]
	;; [unrolled: 1-line block ×4, first 2 shown]
	v_add_f64 v[79:80], v[22:23], v[52:53]
	v_add_f64 v[81:82], v[24:25], v[54:55]
	v_fma_f64 v[34:35], v[14:15], s[26:27], v[34:35]
	v_fma_f64 v[36:37], v[12:13], s[26:27], v[36:37]
	v_add_f64 v[40:41], v[40:41], v[52:53]
	v_add_f64 v[42:43], v[42:43], v[54:55]
	v_add_f64 v[24:25], v[26:27], v[52:53]
	v_add_f64 v[26:27], v[38:39], v[54:55]
	v_fma_f64 v[87:88], v[16:17], s[26:27], v[48:49]
	v_fma_f64 v[58:59], v[20:21], s[26:27], v[58:59]
	;; [unrolled: 1-line block ×3, first 2 shown]
	v_add_f64 v[85:86], v[30:31], v[28:29]
	v_add_f64 v[89:90], v[32:33], v[46:47]
	v_fma_f64 v[52:53], v[16:17], s[26:27], v[83:84]
	v_fma_f64 v[54:55], v[16:17], s[26:27], v[18:19]
	;; [unrolled: 1-line block ×3, first 2 shown]
	v_add_f64 v[75:76], v[75:76], v[28:29]
	v_add_f64 v[77:78], v[77:78], v[46:47]
	;; [unrolled: 1-line block ×5, first 2 shown]
	v_add_f64 v[14:15], v[81:82], -v[67:68]
	v_add_f64 v[32:33], v[79:80], -v[69:70]
	v_add_f64 v[16:17], v[36:37], v[40:41]
	v_add_f64 v[18:19], v[42:43], -v[34:35]
	v_add_f64 v[20:21], v[24:25], -v[73:74]
	v_add_f64 v[22:23], v[71:72], v[26:27]
	v_add_f64 v[24:25], v[73:74], v[24:25]
	v_add_f64 v[26:27], v[26:27], -v[71:72]
	v_add_f64 v[28:29], v[40:41], -v[36:37]
	v_add_f64 v[30:31], v[34:35], v[42:43]
	v_add_f64 v[34:35], v[67:68], v[81:82]
	;; [unrolled: 1-line block ×3, first 2 shown]
	v_add_f64 v[38:39], v[89:90], -v[87:88]
	v_add_co_u32 v67, s0, s8, v63
	v_add_f64 v[40:41], v[83:84], v[75:76]
	v_add_f64 v[42:43], v[77:78], -v[54:55]
	v_add_f64 v[44:45], v[50:51], -v[48:49]
	v_add_f64 v[46:47], v[52:53], v[56:57]
	v_add_f64 v[48:49], v[48:49], v[50:51]
	v_add_f64 v[50:51], v[56:57], -v[52:53]
	v_add_f64 v[52:53], v[75:76], -v[83:84]
	v_add_f64 v[54:55], v[54:55], v[77:78]
	v_add_f64 v[56:57], v[85:86], -v[58:59]
	v_add_f64 v[58:59], v[87:88], v[89:90]
	v_add_co_ci_u32_e64 v68, null, s9, 0, s0
	ds_store_b128 v0, v[4:7]
	ds_store_b128 v0, v[12:15] offset:576
	ds_store_b128 v0, v[16:19] offset:1152
	;; [unrolled: 1-line block ×6, first 2 shown]
	ds_store_b128 v1, v[8:11]
	ds_store_b128 v1, v[36:39] offset:576
	ds_store_b128 v1, v[40:43] offset:1152
	;; [unrolled: 1-line block ×6, first 2 shown]
	v_add_co_u32 v44, s0, 0x2f40, v67
	s_waitcnt lgkmcnt(0)
	s_barrier
	buffer_gl0_inv
	s_clause 0x2
	global_load_b128 v[0:3], v63, s[8:9] offset:4000
	global_load_b128 v[4:7], v63, s[8:9] offset:4016
	;; [unrolled: 1-line block ×3, first 2 shown]
	v_add_co_ci_u32_e64 v45, s0, 0, v68, s0
	s_clause 0x8
	global_load_b128 v[12:15], v63, s[8:9] offset:4064
	global_load_b128 v[16:19], v[44:45], off offset:4000
	global_load_b128 v[20:23], v[44:45], off offset:4016
	;; [unrolled: 1-line block ×4, first 2 shown]
	global_load_b128 v[32:35], v63, s[8:9] offset:4032
	global_load_b128 v[36:39], v63, s[8:9] offset:4048
	global_load_b128 v[40:43], v[44:45], off offset:4032
	global_load_b128 v[44:47], v[44:45], off offset:4048
	ds_load_b128 v[48:51], v66 offset:4032
	ds_load_b128 v[52:55], v66 offset:8064
	;; [unrolled: 1-line block ×12, first 2 shown]
	s_waitcnt vmcnt(8) lgkmcnt(8)
	v_mul_f64 v[109:110], v[69:70], v[14:15]
	v_mul_f64 v[103:104], v[50:51], v[2:3]
	;; [unrolled: 1-line block ×8, first 2 shown]
	s_waitcnt vmcnt(7) lgkmcnt(7)
	v_mul_f64 v[111:112], v[73:74], v[18:19]
	v_mul_f64 v[18:19], v[71:72], v[18:19]
	s_waitcnt vmcnt(6) lgkmcnt(6)
	v_mul_f64 v[113:114], v[77:78], v[22:23]
	v_mul_f64 v[22:23], v[75:76], v[22:23]
	;; [unrolled: 3-line block ×5, first 2 shown]
	s_waitcnt vmcnt(2)
	v_mul_f64 v[121:122], v[89:90], v[38:39]
	v_mul_f64 v[38:39], v[87:88], v[38:39]
	v_fma_f64 v[48:49], v[48:49], v[0:1], v[103:104]
	v_fma_f64 v[0:1], v[50:51], v[0:1], -v[2:3]
	v_fma_f64 v[2:3], v[52:53], v[4:5], v[105:106]
	v_fma_f64 v[4:5], v[54:55], v[4:5], -v[6:7]
	;; [unrolled: 2-line block ×4, first 2 shown]
	s_waitcnt vmcnt(1) lgkmcnt(1)
	v_mul_f64 v[14:15], v[97:98], v[42:43]
	v_mul_f64 v[42:43], v[95:96], v[42:43]
	s_waitcnt vmcnt(0) lgkmcnt(0)
	v_mul_f64 v[50:51], v[101:102], v[46:47]
	v_mul_f64 v[46:47], v[99:100], v[46:47]
	v_fma_f64 v[52:53], v[71:72], v[16:17], v[111:112]
	v_fma_f64 v[16:17], v[73:74], v[16:17], -v[18:19]
	v_fma_f64 v[18:19], v[75:76], v[20:21], v[113:114]
	v_fma_f64 v[20:21], v[77:78], v[20:21], -v[22:23]
	;; [unrolled: 2-line block ×6, first 2 shown]
	v_add_f64 v[38:39], v[48:49], v[6:7]
	v_add_f64 v[54:55], v[0:1], v[8:9]
	v_add_f64 v[56:57], v[2:3], v[10:11]
	v_add_f64 v[58:59], v[4:5], v[12:13]
	v_fma_f64 v[14:15], v[95:96], v[40:41], v[14:15]
	v_fma_f64 v[40:41], v[97:98], v[40:41], -v[42:43]
	v_fma_f64 v[42:43], v[99:100], v[44:45], v[50:51]
	v_fma_f64 v[44:45], v[101:102], v[44:45], -v[46:47]
	v_add_f64 v[10:11], v[2:3], -v[10:11]
	v_add_f64 v[12:13], v[4:5], -v[12:13]
	;; [unrolled: 1-line block ×3, first 2 shown]
	v_add_f64 v[46:47], v[52:53], v[22:23]
	v_add_f64 v[50:51], v[16:17], v[24:25]
	;; [unrolled: 1-line block ×4, first 2 shown]
	v_add_f64 v[18:19], v[18:19], -v[26:27]
	v_add_f64 v[20:21], v[20:21], -v[28:29]
	v_add_f64 v[71:72], v[30:31], v[34:35]
	v_add_f64 v[73:74], v[32:33], v[36:37]
	v_add_f64 v[30:31], v[34:35], -v[30:31]
	v_add_f64 v[32:33], v[36:37], -v[32:33]
	;; [unrolled: 1-line block ×5, first 2 shown]
	v_add_f64 v[0:1], v[56:57], v[38:39]
	v_add_f64 v[2:3], v[58:59], v[54:55]
	;; [unrolled: 1-line block ×4, first 2 shown]
	v_add_f64 v[14:15], v[42:43], -v[14:15]
	v_add_f64 v[26:27], v[44:45], -v[40:41]
	;; [unrolled: 1-line block ×3, first 2 shown]
	v_add_f64 v[24:25], v[67:68], v[46:47]
	v_add_f64 v[28:29], v[69:70], v[50:51]
	v_add_f64 v[36:37], v[38:39], -v[71:72]
	v_add_f64 v[40:41], v[54:55], -v[73:74]
	;; [unrolled: 1-line block ×11, first 2 shown]
	v_add_f64 v[10:11], v[30:31], v[10:11]
	v_add_f64 v[12:13], v[32:33], v[12:13]
	v_add_f64 v[30:31], v[34:35], -v[30:31]
	v_add_f64 v[32:33], v[8:9], -v[32:33]
	v_add_f64 v[71:72], v[71:72], v[0:1]
	v_add_f64 v[73:74], v[73:74], v[2:3]
	v_add_f64 v[79:80], v[46:47], -v[4:5]
	v_add_f64 v[81:82], v[50:51], -v[6:7]
	v_add_f64 v[83:84], v[14:15], -v[18:19]
	v_add_f64 v[85:86], v[26:27], -v[20:21]
	v_add_f64 v[91:92], v[4:5], -v[67:68]
	v_add_f64 v[93:94], v[6:7], -v[69:70]
	v_add_f64 v[18:19], v[14:15], v[18:19]
	v_add_f64 v[20:21], v[26:27], v[20:21]
	;; [unrolled: 1-line block ×4, first 2 shown]
	ds_load_b128 v[0:3], v66
	ds_load_b128 v[4:7], v66 offset:2016
	v_mul_f64 v[97:98], v[77:78], s[10:11]
	v_mul_f64 v[36:37], v[36:37], s[14:15]
	;; [unrolled: 1-line block ×7, first 2 shown]
	v_add_f64 v[14:15], v[22:23], -v[14:15]
	v_add_f64 v[26:27], v[16:17], -v[26:27]
	v_mul_f64 v[95:96], v[75:76], s[10:11]
	v_mul_f64 v[99:100], v[87:88], s[10:11]
	;; [unrolled: 1-line block ×3, first 2 shown]
	v_add_f64 v[46:47], v[67:68], -v[46:47]
	v_add_f64 v[50:51], v[69:70], -v[50:51]
	v_add_f64 v[10:11], v[10:11], v[34:35]
	v_add_f64 v[8:9], v[12:13], v[8:9]
	s_waitcnt lgkmcnt(0)
	s_barrier
	buffer_gl0_inv
	v_add_f64 v[0:1], v[0:1], v[71:72]
	v_add_f64 v[2:3], v[2:3], v[73:74]
	v_mul_f64 v[79:80], v[79:80], s[14:15]
	v_mul_f64 v[81:82], v[81:82], s[14:15]
	;; [unrolled: 1-line block ×6, first 2 shown]
	v_add_f64 v[12:13], v[18:19], v[22:23]
	v_add_f64 v[16:17], v[20:21], v[16:17]
	;; [unrolled: 1-line block ×4, first 2 shown]
	v_fma_f64 v[18:19], v[42:43], s[4:5], v[36:37]
	v_fma_f64 v[20:21], v[44:45], s[4:5], v[40:41]
	v_fma_f64 v[22:23], v[38:39], s[16:17], -v[56:57]
	v_fma_f64 v[34:35], v[54:55], s[16:17], -v[58:59]
	v_fma_f64 v[42:43], v[30:31], s[24:25], v[48:49]
	v_fma_f64 v[44:45], v[32:33], s[24:25], v[52:53]
	v_fma_f64 v[32:33], v[32:33], s[22:23], -v[97:98]
	v_fma_f64 v[36:37], v[38:39], s[20:21], -v[36:37]
	v_fma_f64 v[38:39], v[54:55], s[20:21], -v[40:41]
	v_fma_f64 v[30:31], v[30:31], s[22:23], -v[95:96]
	v_fma_f64 v[48:49], v[75:76], s[10:11], -v[48:49]
	v_fma_f64 v[52:53], v[77:78], s[10:11], -v[52:53]
	v_fma_f64 v[56:57], v[71:72], s[12:13], v[0:1]
	v_fma_f64 v[58:59], v[73:74], s[12:13], v[2:3]
	;; [unrolled: 1-line block ×6, first 2 shown]
	v_fma_f64 v[75:76], v[87:88], s[10:11], -v[83:84]
	v_fma_f64 v[77:78], v[89:90], s[10:11], -v[85:86]
	;; [unrolled: 1-line block ×4, first 2 shown]
	v_fma_f64 v[24:25], v[24:25], s[12:13], v[4:5]
	v_fma_f64 v[28:29], v[28:29], s[12:13], v[6:7]
	v_fma_f64 v[79:80], v[46:47], s[20:21], -v[79:80]
	v_fma_f64 v[81:82], v[50:51], s[20:21], -v[81:82]
	;; [unrolled: 1-line block ×4, first 2 shown]
	v_fma_f64 v[42:43], v[10:11], s[26:27], v[42:43]
	v_fma_f64 v[44:45], v[8:9], s[26:27], v[44:45]
	;; [unrolled: 1-line block ×6, first 2 shown]
	v_add_f64 v[67:68], v[18:19], v[56:57]
	v_add_f64 v[69:70], v[20:21], v[58:59]
	;; [unrolled: 1-line block ×6, first 2 shown]
	v_fma_f64 v[56:57], v[12:13], s[26:27], v[71:72]
	v_fma_f64 v[58:59], v[16:17], s[26:27], v[73:74]
	;; [unrolled: 1-line block ×6, first 2 shown]
	v_add_f64 v[83:84], v[40:41], v[24:25]
	v_add_f64 v[54:55], v[54:55], v[28:29]
	;; [unrolled: 1-line block ×7, first 2 shown]
	v_add_f64 v[10:11], v[69:70], -v[42:43]
	v_add_f64 v[12:13], v[32:33], v[36:37]
	v_add_f64 v[24:25], v[36:37], -v[32:33]
	v_add_f64 v[14:15], v[38:39], -v[30:31]
	v_add_f64 v[26:27], v[30:31], v[38:39]
	v_add_f64 v[16:17], v[20:21], -v[52:53]
	v_add_f64 v[18:19], v[48:49], v[22:23]
	v_add_f64 v[30:31], v[42:43], v[69:70]
	;; [unrolled: 1-line block ×3, first 2 shown]
	v_add_f64 v[22:23], v[22:23], -v[48:49]
	v_add_f64 v[28:29], v[67:68], -v[44:45]
	v_add_f64 v[32:33], v[58:59], v[83:84]
	v_add_f64 v[34:35], v[54:55], -v[56:57]
	v_add_f64 v[36:37], v[77:78], v[79:80]
	v_add_f64 v[38:39], v[81:82], -v[75:76]
	v_add_f64 v[40:41], v[46:47], -v[73:74]
	v_add_f64 v[42:43], v[71:72], v[50:51]
	v_add_f64 v[44:45], v[73:74], v[46:47]
	v_add_f64 v[46:47], v[50:51], -v[71:72]
	v_add_f64 v[48:49], v[79:80], -v[77:78]
	v_add_f64 v[50:51], v[75:76], v[81:82]
	v_add_f64 v[52:53], v[83:84], -v[58:59]
	v_add_f64 v[54:55], v[56:57], v[54:55]
	ds_store_b128 v66, v[0:3]
	ds_store_b128 v66, v[4:7] offset:2016
	ds_store_b128 v66, v[8:11] offset:4032
	;; [unrolled: 1-line block ×13, first 2 shown]
	s_waitcnt lgkmcnt(0)
	s_barrier
	buffer_gl0_inv
	s_and_saveexec_b32 s0, vcc_lo
	s_cbranch_execz .LBB0_29
; %bb.28:
	v_mul_lo_u32 v2, s3, v64
	v_mul_lo_u32 v3, s2, v65
	v_mad_u64_u32 v[0:1], null, s2, v64, 0
	v_dual_mov_b32 v63, 0 :: v_dual_add_nc_u32 v10, 0x7e, v62
	v_lshlrev_b64 v[8:9], 4, v[60:61]
	v_lshl_add_u32 v34, v62, 4, 0
	s_delay_alu instid0(VALU_DEP_3) | instskip(SKIP_4) | instid1(VALU_DEP_4)
	v_dual_mov_b32 v11, v63 :: v_dual_add_nc_u32 v12, 0xfc, v62
	v_add3_u32 v1, v1, v3, v2
	v_lshlrev_b64 v[14:15], 4, v[62:63]
	v_dual_mov_b32 v13, v63 :: v_dual_add_nc_u32 v22, 0x17a, v62
	v_dual_mov_b32 v23, v63 :: v_dual_add_nc_u32 v24, 0x1f8, v62
	v_lshlrev_b64 v[16:17], 4, v[0:1]
	ds_load_b128 v[0:3], v34
	ds_load_b128 v[4:7], v34 offset:2016
	v_mov_b32_e32 v25, v63
	v_lshlrev_b64 v[22:23], 4, v[22:23]
	v_add_co_u32 v18, vcc_lo, s6, v16
	v_add_co_ci_u32_e32 v19, vcc_lo, s7, v17, vcc_lo
	v_lshlrev_b64 v[16:17], 4, v[10:11]
	s_delay_alu instid0(VALU_DEP_3) | instskip(NEXT) | instid1(VALU_DEP_3)
	v_add_co_u32 v36, vcc_lo, v18, v8
	v_add_co_ci_u32_e32 v37, vcc_lo, v19, v9, vcc_lo
	v_lshlrev_b64 v[18:19], 4, v[12:13]
	s_delay_alu instid0(VALU_DEP_3) | instskip(NEXT) | instid1(VALU_DEP_3)
	v_add_co_u32 v20, vcc_lo, v36, v14
	v_add_co_ci_u32_e32 v21, vcc_lo, v37, v15, vcc_lo
	ds_load_b128 v[8:11], v34 offset:4032
	ds_load_b128 v[12:15], v34 offset:6048
	v_add_co_u32 v16, vcc_lo, v36, v16
	v_add_co_ci_u32_e32 v17, vcc_lo, v37, v17, vcc_lo
	v_add_co_u32 v18, vcc_lo, v36, v18
	v_add_co_ci_u32_e32 v19, vcc_lo, v37, v19, vcc_lo
	;; [unrolled: 2-line block ×3, first 2 shown]
	s_waitcnt lgkmcnt(3)
	global_store_b128 v[20:21], v[0:3], off
	s_waitcnt lgkmcnt(2)
	global_store_b128 v[16:17], v[4:7], off
	;; [unrolled: 2-line block ×4, first 2 shown]
	v_add_nc_u32_e32 v8, 0x276, v62
	v_lshlrev_b64 v[0:1], 4, v[24:25]
	v_dual_mov_b32 v9, v63 :: v_dual_add_nc_u32 v10, 0x2f4, v62
	v_dual_mov_b32 v11, v63 :: v_dual_add_nc_u32 v22, 0x372, v62
	;; [unrolled: 1-line block ×3, first 2 shown]
	s_delay_alu instid0(VALU_DEP_4)
	v_add_co_u32 v16, vcc_lo, v36, v0
	v_add_co_ci_u32_e32 v17, vcc_lo, v37, v1, vcc_lo
	ds_load_b128 v[0:3], v34 offset:8064
	ds_load_b128 v[4:7], v34 offset:10080
	v_lshlrev_b64 v[18:19], 4, v[8:9]
	v_lshlrev_b64 v[20:21], 4, v[10:11]
	ds_load_b128 v[8:11], v34 offset:12096
	ds_load_b128 v[12:15], v34 offset:14112
	v_lshlrev_b64 v[22:23], 4, v[22:23]
	v_add_co_u32 v18, vcc_lo, v36, v18
	v_add_co_ci_u32_e32 v19, vcc_lo, v37, v19, vcc_lo
	v_add_co_u32 v20, vcc_lo, v36, v20
	v_add_co_ci_u32_e32 v21, vcc_lo, v37, v21, vcc_lo
	v_add_co_u32 v22, vcc_lo, v36, v22
	s_waitcnt lgkmcnt(3)
	global_store_b128 v[16:17], v[0:3], off
	s_waitcnt lgkmcnt(2)
	global_store_b128 v[18:19], v[4:7], off
	v_dual_mov_b32 v3, v63 :: v_dual_add_nc_u32 v2, 0x46e, v62
	v_add_co_ci_u32_e32 v23, vcc_lo, v37, v23, vcc_lo
	v_lshlrev_b64 v[0:1], 4, v[24:25]
	s_waitcnt lgkmcnt(1)
	global_store_b128 v[20:21], v[8:11], off
	s_waitcnt lgkmcnt(0)
	global_store_b128 v[22:23], v[12:15], off
	v_lshlrev_b64 v[8:9], 4, v[2:3]
	v_dual_mov_b32 v11, v63 :: v_dual_add_nc_u32 v10, 0x4ec, v62
	v_add_co_u32 v24, vcc_lo, v36, v0
	v_add_co_ci_u32_e32 v25, vcc_lo, v37, v1, vcc_lo
	s_delay_alu instid0(VALU_DEP_4)
	v_add_co_u32 v26, vcc_lo, v36, v8
	v_add_co_ci_u32_e32 v27, vcc_lo, v37, v9, vcc_lo
	v_lshlrev_b64 v[8:9], 4, v[10:11]
	v_dual_mov_b32 v17, v63 :: v_dual_add_nc_u32 v16, 0x56a, v62
	v_dual_mov_b32 v19, v63 :: v_dual_add_nc_u32 v18, 0x5e8, v62
	ds_load_b128 v[0:3], v34 offset:16128
	ds_load_b128 v[4:7], v34 offset:18144
	v_add_co_u32 v28, vcc_lo, v36, v8
	v_add_co_ci_u32_e32 v29, vcc_lo, v37, v9, vcc_lo
	ds_load_b128 v[8:11], v34 offset:20160
	ds_load_b128 v[12:15], v34 offset:22176
	v_lshlrev_b64 v[30:31], 4, v[16:17]
	v_lshlrev_b64 v[32:33], 4, v[18:19]
	ds_load_b128 v[16:19], v34 offset:24192
	ds_load_b128 v[20:23], v34 offset:26208
	v_add_nc_u32_e32 v62, 0x666, v62
	v_add_co_u32 v30, vcc_lo, v36, v30
	s_delay_alu instid0(VALU_DEP_2) | instskip(SKIP_3) | instid1(VALU_DEP_4)
	v_lshlrev_b64 v[34:35], 4, v[62:63]
	v_add_co_ci_u32_e32 v31, vcc_lo, v37, v31, vcc_lo
	v_add_co_u32 v32, vcc_lo, v36, v32
	v_add_co_ci_u32_e32 v33, vcc_lo, v37, v33, vcc_lo
	v_add_co_u32 v34, vcc_lo, v36, v34
	v_add_co_ci_u32_e32 v35, vcc_lo, v37, v35, vcc_lo
	s_waitcnt lgkmcnt(5)
	global_store_b128 v[24:25], v[0:3], off
	s_waitcnt lgkmcnt(4)
	global_store_b128 v[26:27], v[4:7], off
	;; [unrolled: 2-line block ×6, first 2 shown]
.LBB0_29:
	s_nop 0
	s_sendmsg sendmsg(MSG_DEALLOC_VGPRS)
	s_endpgm
	.section	.rodata,"a",@progbits
	.p2align	6, 0x0
	.amdhsa_kernel fft_rtc_back_len1764_factors_2_2_3_3_7_7_wgs_126_tpt_126_halfLds_dp_op_CI_CI_unitstride_sbrr_C2R_dirReg
		.amdhsa_group_segment_fixed_size 0
		.amdhsa_private_segment_fixed_size 0
		.amdhsa_kernarg_size 104
		.amdhsa_user_sgpr_count 15
		.amdhsa_user_sgpr_dispatch_ptr 0
		.amdhsa_user_sgpr_queue_ptr 0
		.amdhsa_user_sgpr_kernarg_segment_ptr 1
		.amdhsa_user_sgpr_dispatch_id 0
		.amdhsa_user_sgpr_private_segment_size 0
		.amdhsa_wavefront_size32 1
		.amdhsa_uses_dynamic_stack 0
		.amdhsa_enable_private_segment 0
		.amdhsa_system_sgpr_workgroup_id_x 1
		.amdhsa_system_sgpr_workgroup_id_y 0
		.amdhsa_system_sgpr_workgroup_id_z 0
		.amdhsa_system_sgpr_workgroup_info 0
		.amdhsa_system_vgpr_workitem_id 0
		.amdhsa_next_free_vgpr 125
		.amdhsa_next_free_sgpr 28
		.amdhsa_reserve_vcc 1
		.amdhsa_float_round_mode_32 0
		.amdhsa_float_round_mode_16_64 0
		.amdhsa_float_denorm_mode_32 3
		.amdhsa_float_denorm_mode_16_64 3
		.amdhsa_dx10_clamp 1
		.amdhsa_ieee_mode 1
		.amdhsa_fp16_overflow 0
		.amdhsa_workgroup_processor_mode 1
		.amdhsa_memory_ordered 1
		.amdhsa_forward_progress 0
		.amdhsa_shared_vgpr_count 0
		.amdhsa_exception_fp_ieee_invalid_op 0
		.amdhsa_exception_fp_denorm_src 0
		.amdhsa_exception_fp_ieee_div_zero 0
		.amdhsa_exception_fp_ieee_overflow 0
		.amdhsa_exception_fp_ieee_underflow 0
		.amdhsa_exception_fp_ieee_inexact 0
		.amdhsa_exception_int_div_zero 0
	.end_amdhsa_kernel
	.text
.Lfunc_end0:
	.size	fft_rtc_back_len1764_factors_2_2_3_3_7_7_wgs_126_tpt_126_halfLds_dp_op_CI_CI_unitstride_sbrr_C2R_dirReg, .Lfunc_end0-fft_rtc_back_len1764_factors_2_2_3_3_7_7_wgs_126_tpt_126_halfLds_dp_op_CI_CI_unitstride_sbrr_C2R_dirReg
                                        ; -- End function
	.section	.AMDGPU.csdata,"",@progbits
; Kernel info:
; codeLenInByte = 13456
; NumSgprs: 30
; NumVgprs: 125
; ScratchSize: 0
; MemoryBound: 0
; FloatMode: 240
; IeeeMode: 1
; LDSByteSize: 0 bytes/workgroup (compile time only)
; SGPRBlocks: 3
; VGPRBlocks: 15
; NumSGPRsForWavesPerEU: 30
; NumVGPRsForWavesPerEU: 125
; Occupancy: 10
; WaveLimiterHint : 1
; COMPUTE_PGM_RSRC2:SCRATCH_EN: 0
; COMPUTE_PGM_RSRC2:USER_SGPR: 15
; COMPUTE_PGM_RSRC2:TRAP_HANDLER: 0
; COMPUTE_PGM_RSRC2:TGID_X_EN: 1
; COMPUTE_PGM_RSRC2:TGID_Y_EN: 0
; COMPUTE_PGM_RSRC2:TGID_Z_EN: 0
; COMPUTE_PGM_RSRC2:TIDIG_COMP_CNT: 0
	.text
	.p2alignl 7, 3214868480
	.fill 96, 4, 3214868480
	.type	__hip_cuid_87d45896ac611db4,@object ; @__hip_cuid_87d45896ac611db4
	.section	.bss,"aw",@nobits
	.globl	__hip_cuid_87d45896ac611db4
__hip_cuid_87d45896ac611db4:
	.byte	0                               ; 0x0
	.size	__hip_cuid_87d45896ac611db4, 1

	.ident	"AMD clang version 19.0.0git (https://github.com/RadeonOpenCompute/llvm-project roc-6.4.0 25133 c7fe45cf4b819c5991fe208aaa96edf142730f1d)"
	.section	".note.GNU-stack","",@progbits
	.addrsig
	.addrsig_sym __hip_cuid_87d45896ac611db4
	.amdgpu_metadata
---
amdhsa.kernels:
  - .args:
      - .actual_access:  read_only
        .address_space:  global
        .offset:         0
        .size:           8
        .value_kind:     global_buffer
      - .offset:         8
        .size:           8
        .value_kind:     by_value
      - .actual_access:  read_only
        .address_space:  global
        .offset:         16
        .size:           8
        .value_kind:     global_buffer
      - .actual_access:  read_only
        .address_space:  global
        .offset:         24
        .size:           8
        .value_kind:     global_buffer
      - .actual_access:  read_only
        .address_space:  global
        .offset:         32
        .size:           8
        .value_kind:     global_buffer
      - .offset:         40
        .size:           8
        .value_kind:     by_value
      - .actual_access:  read_only
        .address_space:  global
        .offset:         48
        .size:           8
        .value_kind:     global_buffer
      - .actual_access:  read_only
        .address_space:  global
        .offset:         56
        .size:           8
        .value_kind:     global_buffer
      - .offset:         64
        .size:           4
        .value_kind:     by_value
      - .actual_access:  read_only
        .address_space:  global
        .offset:         72
        .size:           8
        .value_kind:     global_buffer
      - .actual_access:  read_only
        .address_space:  global
        .offset:         80
        .size:           8
        .value_kind:     global_buffer
      - .actual_access:  read_only
        .address_space:  global
        .offset:         88
        .size:           8
        .value_kind:     global_buffer
      - .actual_access:  write_only
        .address_space:  global
        .offset:         96
        .size:           8
        .value_kind:     global_buffer
    .group_segment_fixed_size: 0
    .kernarg_segment_align: 8
    .kernarg_segment_size: 104
    .language:       OpenCL C
    .language_version:
      - 2
      - 0
    .max_flat_workgroup_size: 126
    .name:           fft_rtc_back_len1764_factors_2_2_3_3_7_7_wgs_126_tpt_126_halfLds_dp_op_CI_CI_unitstride_sbrr_C2R_dirReg
    .private_segment_fixed_size: 0
    .sgpr_count:     30
    .sgpr_spill_count: 0
    .symbol:         fft_rtc_back_len1764_factors_2_2_3_3_7_7_wgs_126_tpt_126_halfLds_dp_op_CI_CI_unitstride_sbrr_C2R_dirReg.kd
    .uniform_work_group_size: 1
    .uses_dynamic_stack: false
    .vgpr_count:     125
    .vgpr_spill_count: 0
    .wavefront_size: 32
    .workgroup_processor_mode: 1
amdhsa.target:   amdgcn-amd-amdhsa--gfx1100
amdhsa.version:
  - 1
  - 2
...

	.end_amdgpu_metadata
